;; amdgpu-corpus repo=ROCm/rocFFT kind=compiled arch=gfx1030 opt=O3
	.text
	.amdgcn_target "amdgcn-amd-amdhsa--gfx1030"
	.amdhsa_code_object_version 6
	.protected	fft_rtc_back_len510_factors_17_2_3_5_wgs_238_tpt_34_halfLds_half_op_CI_CI_unitstride_sbrr_C2R_dirReg ; -- Begin function fft_rtc_back_len510_factors_17_2_3_5_wgs_238_tpt_34_halfLds_half_op_CI_CI_unitstride_sbrr_C2R_dirReg
	.globl	fft_rtc_back_len510_factors_17_2_3_5_wgs_238_tpt_34_halfLds_half_op_CI_CI_unitstride_sbrr_C2R_dirReg
	.p2align	8
	.type	fft_rtc_back_len510_factors_17_2_3_5_wgs_238_tpt_34_halfLds_half_op_CI_CI_unitstride_sbrr_C2R_dirReg,@function
fft_rtc_back_len510_factors_17_2_3_5_wgs_238_tpt_34_halfLds_half_op_CI_CI_unitstride_sbrr_C2R_dirReg: ; @fft_rtc_back_len510_factors_17_2_3_5_wgs_238_tpt_34_halfLds_half_op_CI_CI_unitstride_sbrr_C2R_dirReg
; %bb.0:
	s_load_dwordx4 s[12:15], s[4:5], 0x0
	v_mul_u32_u24_e32 v1, 0x788, v0
	s_clause 0x1
	s_load_dwordx4 s[8:11], s[4:5], 0x58
	s_load_dwordx4 s[16:19], s[4:5], 0x18
	v_mov_b32_e32 v9, 0
	v_mov_b32_e32 v7, 0
	;; [unrolled: 1-line block ×3, first 2 shown]
	v_lshrrev_b32_e32 v1, 16, v1
	v_mad_u64_u32 v[3:4], null, s6, 7, v[1:2]
	v_mov_b32_e32 v4, v9
	v_mov_b32_e32 v1, v7
	;; [unrolled: 1-line block ×5, first 2 shown]
	s_waitcnt lgkmcnt(0)
	v_cmp_lt_u64_e64 s0, s[14:15], 2
	s_and_b32 vcc_lo, exec_lo, s0
	s_cbranch_vccnz .LBB0_8
; %bb.1:
	s_load_dwordx2 s[0:1], s[4:5], 0x10
	v_mov_b32_e32 v7, 0
	v_mov_b32_e32 v8, 0
	s_add_u32 s2, s18, 8
	v_mov_b32_e32 v12, v4
	s_addc_u32 s3, s19, 0
	v_mov_b32_e32 v1, v7
	v_mov_b32_e32 v11, v3
	s_add_u32 s6, s16, 8
	v_mov_b32_e32 v2, v8
	s_addc_u32 s7, s17, 0
	s_mov_b64 s[22:23], 1
	s_waitcnt lgkmcnt(0)
	s_add_u32 s20, s0, 8
	s_addc_u32 s21, s1, 0
.LBB0_2:                                ; =>This Inner Loop Header: Depth=1
	s_load_dwordx2 s[24:25], s[20:21], 0x0
                                        ; implicit-def: $vgpr5_vgpr6
	s_mov_b32 s0, exec_lo
	s_waitcnt lgkmcnt(0)
	v_or_b32_e32 v10, s25, v12
	v_cmpx_ne_u64_e32 0, v[9:10]
	s_xor_b32 s1, exec_lo, s0
	s_cbranch_execz .LBB0_4
; %bb.3:                                ;   in Loop: Header=BB0_2 Depth=1
	v_cvt_f32_u32_e32 v4, s24
	v_cvt_f32_u32_e32 v5, s25
	s_sub_u32 s0, 0, s24
	s_subb_u32 s26, 0, s25
	v_fmac_f32_e32 v4, 0x4f800000, v5
	v_rcp_f32_e32 v4, v4
	v_mul_f32_e32 v4, 0x5f7ffffc, v4
	v_mul_f32_e32 v5, 0x2f800000, v4
	v_trunc_f32_e32 v5, v5
	v_fmac_f32_e32 v4, 0xcf800000, v5
	v_cvt_u32_f32_e32 v5, v5
	v_cvt_u32_f32_e32 v4, v4
	v_mul_lo_u32 v6, s0, v5
	v_mul_hi_u32 v10, s0, v4
	v_mul_lo_u32 v13, s26, v4
	v_add_nc_u32_e32 v6, v10, v6
	v_mul_lo_u32 v10, s0, v4
	v_add_nc_u32_e32 v6, v6, v13
	v_mul_hi_u32 v13, v4, v10
	v_mul_lo_u32 v14, v4, v6
	v_mul_hi_u32 v15, v4, v6
	v_mul_hi_u32 v16, v5, v10
	v_mul_lo_u32 v10, v5, v10
	v_mul_hi_u32 v17, v5, v6
	v_mul_lo_u32 v6, v5, v6
	v_add_co_u32 v13, vcc_lo, v13, v14
	v_add_co_ci_u32_e32 v14, vcc_lo, 0, v15, vcc_lo
	v_add_co_u32 v10, vcc_lo, v13, v10
	v_add_co_ci_u32_e32 v10, vcc_lo, v14, v16, vcc_lo
	v_add_co_ci_u32_e32 v13, vcc_lo, 0, v17, vcc_lo
	v_add_co_u32 v6, vcc_lo, v10, v6
	v_add_co_ci_u32_e32 v10, vcc_lo, 0, v13, vcc_lo
	v_add_co_u32 v4, vcc_lo, v4, v6
	v_add_co_ci_u32_e32 v5, vcc_lo, v5, v10, vcc_lo
	v_mul_hi_u32 v6, s0, v4
	v_mul_lo_u32 v13, s26, v4
	v_mul_lo_u32 v10, s0, v5
	v_add_nc_u32_e32 v6, v6, v10
	v_mul_lo_u32 v10, s0, v4
	v_add_nc_u32_e32 v6, v6, v13
	v_mul_hi_u32 v13, v4, v10
	v_mul_lo_u32 v14, v4, v6
	v_mul_hi_u32 v15, v4, v6
	v_mul_hi_u32 v16, v5, v10
	v_mul_lo_u32 v10, v5, v10
	v_mul_hi_u32 v17, v5, v6
	v_mul_lo_u32 v6, v5, v6
	v_add_co_u32 v13, vcc_lo, v13, v14
	v_add_co_ci_u32_e32 v14, vcc_lo, 0, v15, vcc_lo
	v_add_co_u32 v10, vcc_lo, v13, v10
	v_add_co_ci_u32_e32 v10, vcc_lo, v14, v16, vcc_lo
	v_add_co_ci_u32_e32 v13, vcc_lo, 0, v17, vcc_lo
	v_add_co_u32 v6, vcc_lo, v10, v6
	v_add_co_ci_u32_e32 v10, vcc_lo, 0, v13, vcc_lo
	v_add_co_u32 v6, vcc_lo, v4, v6
	v_add_co_ci_u32_e32 v10, vcc_lo, v5, v10, vcc_lo
	v_mul_hi_u32 v17, v11, v6
	v_mad_u64_u32 v[13:14], null, v12, v6, 0
	v_mad_u64_u32 v[4:5], null, v11, v10, 0
	;; [unrolled: 1-line block ×3, first 2 shown]
	v_add_co_u32 v4, vcc_lo, v17, v4
	v_add_co_ci_u32_e32 v5, vcc_lo, 0, v5, vcc_lo
	v_add_co_u32 v4, vcc_lo, v4, v13
	v_add_co_ci_u32_e32 v4, vcc_lo, v5, v14, vcc_lo
	v_add_co_ci_u32_e32 v5, vcc_lo, 0, v16, vcc_lo
	v_add_co_u32 v10, vcc_lo, v4, v15
	v_add_co_ci_u32_e32 v6, vcc_lo, 0, v5, vcc_lo
	v_mul_lo_u32 v13, s25, v10
	v_mad_u64_u32 v[4:5], null, s24, v10, 0
	v_mul_lo_u32 v14, s24, v6
	v_sub_co_u32 v4, vcc_lo, v11, v4
	v_add3_u32 v5, v5, v14, v13
	v_sub_nc_u32_e32 v13, v12, v5
	v_subrev_co_ci_u32_e64 v13, s0, s25, v13, vcc_lo
	v_add_co_u32 v14, s0, v10, 2
	v_add_co_ci_u32_e64 v15, s0, 0, v6, s0
	v_sub_co_u32 v16, s0, v4, s24
	v_sub_co_ci_u32_e32 v5, vcc_lo, v12, v5, vcc_lo
	v_subrev_co_ci_u32_e64 v13, s0, 0, v13, s0
	v_cmp_le_u32_e32 vcc_lo, s24, v16
	v_cmp_eq_u32_e64 s0, s25, v5
	v_cndmask_b32_e64 v16, 0, -1, vcc_lo
	v_cmp_le_u32_e32 vcc_lo, s25, v13
	v_cndmask_b32_e64 v17, 0, -1, vcc_lo
	v_cmp_le_u32_e32 vcc_lo, s24, v4
	;; [unrolled: 2-line block ×3, first 2 shown]
	v_cndmask_b32_e64 v18, 0, -1, vcc_lo
	v_cmp_eq_u32_e32 vcc_lo, s25, v13
	v_cndmask_b32_e64 v4, v18, v4, s0
	v_cndmask_b32_e32 v13, v17, v16, vcc_lo
	v_add_co_u32 v16, vcc_lo, v10, 1
	v_add_co_ci_u32_e32 v17, vcc_lo, 0, v6, vcc_lo
	v_cmp_ne_u32_e32 vcc_lo, 0, v13
	v_cndmask_b32_e32 v5, v17, v15, vcc_lo
	v_cndmask_b32_e32 v13, v16, v14, vcc_lo
	v_cmp_ne_u32_e32 vcc_lo, 0, v4
	v_cndmask_b32_e32 v6, v6, v5, vcc_lo
	v_cndmask_b32_e32 v5, v10, v13, vcc_lo
.LBB0_4:                                ;   in Loop: Header=BB0_2 Depth=1
	s_andn2_saveexec_b32 s0, s1
	s_cbranch_execz .LBB0_6
; %bb.5:                                ;   in Loop: Header=BB0_2 Depth=1
	v_cvt_f32_u32_e32 v4, s24
	s_sub_i32 s1, 0, s24
	v_rcp_iflag_f32_e32 v4, v4
	v_mul_f32_e32 v4, 0x4f7ffffe, v4
	v_cvt_u32_f32_e32 v4, v4
	v_mul_lo_u32 v5, s1, v4
	v_mul_hi_u32 v5, v4, v5
	v_add_nc_u32_e32 v4, v4, v5
	v_mul_hi_u32 v4, v11, v4
	v_mul_lo_u32 v5, v4, s24
	v_add_nc_u32_e32 v6, 1, v4
	v_sub_nc_u32_e32 v5, v11, v5
	v_subrev_nc_u32_e32 v10, s24, v5
	v_cmp_le_u32_e32 vcc_lo, s24, v5
	v_cndmask_b32_e32 v5, v5, v10, vcc_lo
	v_cndmask_b32_e32 v4, v4, v6, vcc_lo
	v_cmp_le_u32_e32 vcc_lo, s24, v5
	v_add_nc_u32_e32 v6, 1, v4
	v_cndmask_b32_e32 v5, v4, v6, vcc_lo
	v_mov_b32_e32 v6, v9
.LBB0_6:                                ;   in Loop: Header=BB0_2 Depth=1
	s_or_b32 exec_lo, exec_lo, s0
	v_mul_lo_u32 v4, v6, s24
	v_mul_lo_u32 v10, v5, s25
	s_load_dwordx2 s[0:1], s[6:7], 0x0
	v_mad_u64_u32 v[13:14], null, v5, s24, 0
	s_load_dwordx2 s[24:25], s[2:3], 0x0
	s_add_u32 s22, s22, 1
	s_addc_u32 s23, s23, 0
	s_add_u32 s2, s2, 8
	s_addc_u32 s3, s3, 0
	s_add_u32 s6, s6, 8
	v_add3_u32 v4, v14, v10, v4
	v_sub_co_u32 v10, vcc_lo, v11, v13
	s_addc_u32 s7, s7, 0
	s_add_u32 s20, s20, 8
	v_sub_co_ci_u32_e32 v4, vcc_lo, v12, v4, vcc_lo
	s_addc_u32 s21, s21, 0
	s_waitcnt lgkmcnt(0)
	v_mul_lo_u32 v11, s0, v4
	v_mul_lo_u32 v12, s1, v10
	v_mad_u64_u32 v[7:8], null, s0, v10, v[7:8]
	v_mul_lo_u32 v4, s24, v4
	v_mul_lo_u32 v13, s25, v10
	v_mad_u64_u32 v[1:2], null, s24, v10, v[1:2]
	v_cmp_ge_u64_e64 s0, s[22:23], s[14:15]
	v_add3_u32 v8, v12, v8, v11
	v_add3_u32 v2, v13, v2, v4
	s_and_b32 vcc_lo, exec_lo, s0
	s_cbranch_vccnz .LBB0_8
; %bb.7:                                ;   in Loop: Header=BB0_2 Depth=1
	v_mov_b32_e32 v12, v6
	v_mov_b32_e32 v11, v5
	s_branch .LBB0_2
.LBB0_8:
	v_mul_hi_u32 v4, 0x24924925, v3
	s_load_dwordx2 s[0:1], s[4:5], 0x28
	s_lshl_b64 s[4:5], s[14:15], 3
	s_add_u32 s2, s18, s4
	s_addc_u32 s3, s19, s5
	v_sub_nc_u32_e32 v9, v3, v4
	v_lshrrev_b32_e32 v9, 1, v9
	v_add_nc_u32_e32 v4, v9, v4
	s_waitcnt lgkmcnt(0)
	v_cmp_gt_u64_e32 vcc_lo, s[0:1], v[5:6]
	v_cmp_le_u64_e64 s0, s[0:1], v[5:6]
	v_lshrrev_b32_e32 v4, 2, v4
	v_mul_lo_u32 v9, v4, 7
	v_mul_hi_u32 v4, 0x7878788, v0
	v_sub_nc_u32_e32 v9, v3, v9
                                        ; implicit-def: $vgpr3
	s_and_saveexec_b32 s1, s0
	s_xor_b32 s0, exec_lo, s1
; %bb.9:
	v_mul_u32_u24_e32 v3, 34, v4
                                        ; implicit-def: $vgpr4
                                        ; implicit-def: $vgpr7_vgpr8
	v_sub_nc_u32_e32 v3, v0, v3
                                        ; implicit-def: $vgpr0
; %bb.10:
	s_or_saveexec_b32 s1, s0
	s_load_dwordx2 s[2:3], s[2:3], 0x0
	v_mul_u32_u24_e32 v10, 0x1ff, v9
	v_lshlrev_b32_e32 v26, 2, v10
	s_xor_b32 exec_lo, exec_lo, s1
	s_cbranch_execz .LBB0_14
; %bb.11:
	s_add_u32 s4, s16, s4
	s_addc_u32 s5, s17, s5
	v_lshlrev_b64 v[7:8], 2, v[7:8]
	s_load_dwordx2 s[4:5], s[4:5], 0x0
	s_waitcnt lgkmcnt(0)
	v_mul_lo_u32 v3, s5, v5
	v_mul_lo_u32 v9, s4, v6
	v_mad_u64_u32 v[11:12], null, s4, v5, 0
	s_mov_b32 s4, exec_lo
	v_add3_u32 v12, v12, v9, v3
	v_mul_u32_u24_e32 v3, 34, v4
	v_lshlrev_b64 v[11:12], 2, v[11:12]
	v_sub_nc_u32_e32 v3, v0, v3
	v_lshlrev_b32_e32 v9, 2, v3
	v_add_co_u32 v0, s0, s8, v11
	v_add_co_ci_u32_e64 v4, s0, s9, v12, s0
	v_add_co_u32 v7, s0, v0, v7
	v_add_co_ci_u32_e64 v8, s0, v4, v8, s0
	v_add3_u32 v0, 0, v26, v9
	v_add_co_u32 v11, s0, v7, v9
	v_add_co_ci_u32_e64 v12, s0, 0, v8, s0
	s_clause 0xe
	global_load_dword v4, v[11:12], off
	global_load_dword v13, v[11:12], off offset:136
	global_load_dword v14, v[11:12], off offset:272
	global_load_dword v15, v[11:12], off offset:408
	global_load_dword v16, v[11:12], off offset:544
	global_load_dword v17, v[11:12], off offset:680
	global_load_dword v18, v[11:12], off offset:816
	global_load_dword v19, v[11:12], off offset:952
	global_load_dword v20, v[11:12], off offset:1088
	global_load_dword v21, v[11:12], off offset:1224
	global_load_dword v22, v[11:12], off offset:1360
	global_load_dword v23, v[11:12], off offset:1496
	global_load_dword v24, v[11:12], off offset:1632
	global_load_dword v25, v[11:12], off offset:1768
	global_load_dword v11, v[11:12], off offset:1904
	v_add_nc_u32_e32 v9, 0x400, v0
	s_waitcnt vmcnt(13)
	ds_write2_b32 v0, v4, v13 offset1:34
	s_waitcnt vmcnt(11)
	ds_write2_b32 v0, v14, v15 offset0:68 offset1:102
	s_waitcnt vmcnt(9)
	ds_write2_b32 v0, v16, v17 offset0:136 offset1:170
	;; [unrolled: 2-line block ×6, first 2 shown]
	s_waitcnt vmcnt(0)
	ds_write_b32 v0, v11 offset:1904
	v_cmpx_eq_u32_e32 33, v3
	s_cbranch_execz .LBB0_13
; %bb.12:
	global_load_dword v4, v[7:8], off offset:2040
	v_mov_b32_e32 v3, 33
	s_waitcnt vmcnt(0)
	ds_write_b32 v0, v4 offset:1908
.LBB0_13:
	s_or_b32 exec_lo, exec_lo, s4
.LBB0_14:
	s_or_b32 exec_lo, exec_lo, s1
	v_lshl_add_u32 v0, v10, 2, 0
	v_lshlrev_b32_e32 v7, 2, v3
	s_waitcnt lgkmcnt(0)
	s_barrier
	buffer_gl0_inv
	s_mov_b32 s1, exec_lo
	v_add_nc_u32_e32 v27, v0, v7
	v_sub_nc_u32_e32 v11, v0, v7
                                        ; implicit-def: $vgpr8_vgpr9
	ds_read_u16 v14, v27
	ds_read_u16 v15, v11 offset:2040
	s_waitcnt lgkmcnt(0)
	v_add_f16_e32 v13, v15, v14
	v_sub_f16_e32 v12, v14, v15
	v_cmpx_ne_u32_e32 0, v3
	s_xor_b32 s1, exec_lo, s1
	s_cbranch_execz .LBB0_16
; %bb.15:
	v_mov_b32_e32 v4, 0
	v_add_f16_e32 v13, v15, v14
	v_sub_f16_e32 v14, v14, v15
	v_lshlrev_b64 v[8:9], 2, v[3:4]
	v_add_co_u32 v8, s0, s12, v8
	v_add_co_ci_u32_e64 v9, s0, s13, v9, s0
	global_load_dword v8, v[8:9], off offset:1972
	ds_read_u16 v9, v11 offset:2042
	ds_read_u16 v12, v27 offset:2
	s_waitcnt lgkmcnt(0)
	v_add_f16_e32 v15, v9, v12
	v_sub_f16_e32 v9, v12, v9
	s_waitcnt vmcnt(0)
	v_lshrrev_b32_e32 v16, 16, v8
	v_fma_f16 v17, -v14, v16, v13
	v_fma_f16 v18, v15, v16, -v9
	v_fma_f16 v12, v15, v16, v9
	v_fma_f16 v13, v14, v16, v13
	v_fmac_f16_e32 v17, v8, v15
	v_fmac_f16_e32 v18, v14, v8
	v_fmac_f16_e32 v12, v14, v8
	v_fma_f16 v13, -v8, v15, v13
	v_mov_b32_e32 v9, v4
	v_mov_b32_e32 v8, v3
	v_pack_b32_f16 v14, v17, v18
	ds_write_b32 v11, v14 offset:2040
.LBB0_16:
	s_andn2_saveexec_b32 s0, s1
	s_cbranch_execz .LBB0_18
; %bb.17:
	ds_read_b32 v4, v0 offset:1020
	v_mov_b32_e32 v8, 0
	v_mov_b32_e32 v9, 0
	s_waitcnt lgkmcnt(0)
	v_pk_mul_f16 v4, 0xc0004000, v4
	ds_write_b32 v0, v4 offset:1020
.LBB0_18:
	s_or_b32 exec_lo, exec_lo, s0
	v_lshlrev_b64 v[8:9], 2, v[8:9]
	s_add_u32 s0, s12, 0x7b4
	s_addc_u32 s1, s13, 0
	v_perm_b32 v12, v12, v13, 0x5040100
	v_add_co_u32 v8, s0, s0, v8
	v_add_co_ci_u32_e64 v9, s0, s1, v9, s0
	v_cmp_gt_u32_e64 s0, 17, v3
	s_clause 0x5
	global_load_dword v4, v[8:9], off offset:136
	global_load_dword v14, v[8:9], off offset:272
	;; [unrolled: 1-line block ×6, first 2 shown]
	ds_write_b32 v27, v12
	ds_read_b32 v12, v27 offset:136
	ds_read_b32 v13, v11 offset:1904
	s_waitcnt lgkmcnt(0)
	v_add_f16_e32 v19, v12, v13
	v_add_f16_sdwa v20, v13, v12 dst_sel:DWORD dst_unused:UNUSED_PAD src0_sel:WORD_1 src1_sel:WORD_1
	v_sub_f16_e32 v21, v12, v13
	v_sub_f16_sdwa v12, v12, v13 dst_sel:DWORD dst_unused:UNUSED_PAD src0_sel:WORD_1 src1_sel:WORD_1
	s_waitcnt vmcnt(5)
	v_lshrrev_b32_e32 v22, 16, v4
	v_fma_f16 v13, v21, v22, v19
	v_fma_f16 v23, v20, v22, v12
	v_fma_f16 v19, -v21, v22, v19
	v_fma_f16 v12, v20, v22, -v12
	v_fma_f16 v13, -v4, v20, v13
	v_fmac_f16_e32 v23, v21, v4
	v_fmac_f16_e32 v19, v4, v20
	;; [unrolled: 1-line block ×3, first 2 shown]
	v_pack_b32_f16 v4, v13, v23
	s_waitcnt vmcnt(4)
	v_lshrrev_b32_e32 v13, 16, v14
	v_pack_b32_f16 v12, v19, v12
	ds_write_b32 v27, v4 offset:136
	ds_write_b32 v11, v12 offset:1904
	ds_read_b32 v4, v27 offset:272
	ds_read_b32 v12, v11 offset:1768
	s_waitcnt lgkmcnt(0)
	v_add_f16_e32 v19, v4, v12
	v_add_f16_sdwa v20, v12, v4 dst_sel:DWORD dst_unused:UNUSED_PAD src0_sel:WORD_1 src1_sel:WORD_1
	v_sub_f16_e32 v21, v4, v12
	v_sub_f16_sdwa v4, v4, v12 dst_sel:DWORD dst_unused:UNUSED_PAD src0_sel:WORD_1 src1_sel:WORD_1
	v_fma_f16 v12, v21, v13, v19
	v_fma_f16 v22, v20, v13, v4
	v_fma_f16 v19, -v21, v13, v19
	v_fma_f16 v4, v20, v13, -v4
	s_waitcnt vmcnt(3)
	v_lshrrev_b32_e32 v13, 16, v15
	v_fma_f16 v12, -v14, v20, v12
	v_fmac_f16_e32 v22, v21, v14
	v_fmac_f16_e32 v19, v14, v20
	v_fmac_f16_e32 v4, v21, v14
	v_pack_b32_f16 v12, v12, v22
	v_pack_b32_f16 v4, v19, v4
	ds_write_b32 v27, v12 offset:272
	ds_write_b32 v11, v4 offset:1768
	ds_read_b32 v4, v27 offset:408
	ds_read_b32 v12, v11 offset:1632
	s_waitcnt lgkmcnt(0)
	v_add_f16_e32 v14, v4, v12
	v_add_f16_sdwa v19, v12, v4 dst_sel:DWORD dst_unused:UNUSED_PAD src0_sel:WORD_1 src1_sel:WORD_1
	v_sub_f16_e32 v20, v4, v12
	v_sub_f16_sdwa v4, v4, v12 dst_sel:DWORD dst_unused:UNUSED_PAD src0_sel:WORD_1 src1_sel:WORD_1
	v_fma_f16 v12, v20, v13, v14
	v_fma_f16 v21, v19, v13, v4
	v_fma_f16 v14, -v20, v13, v14
	v_fma_f16 v4, v19, v13, -v4
	s_waitcnt vmcnt(2)
	v_lshrrev_b32_e32 v13, 16, v16
	v_fma_f16 v12, -v15, v19, v12
	v_fmac_f16_e32 v21, v20, v15
	v_fmac_f16_e32 v14, v15, v19
	v_fmac_f16_e32 v4, v20, v15
	v_pack_b32_f16 v12, v12, v21
	;; [unrolled: 21-line block ×4, first 2 shown]
	v_pack_b32_f16 v4, v14, v4
	ds_write_b32 v27, v12 offset:680
	ds_write_b32 v11, v4 offset:1360
	ds_read_b32 v4, v27 offset:816
	ds_read_b32 v12, v11 offset:1224
	s_waitcnt lgkmcnt(0)
	v_add_f16_e32 v14, v4, v12
	v_add_f16_sdwa v15, v12, v4 dst_sel:DWORD dst_unused:UNUSED_PAD src0_sel:WORD_1 src1_sel:WORD_1
	v_sub_f16_e32 v16, v4, v12
	v_sub_f16_sdwa v4, v4, v12 dst_sel:DWORD dst_unused:UNUSED_PAD src0_sel:WORD_1 src1_sel:WORD_1
	v_fma_f16 v12, v16, v13, v14
	v_fma_f16 v17, v15, v13, v4
	v_fma_f16 v14, -v16, v13, v14
	v_fma_f16 v4, v15, v13, -v4
	v_fma_f16 v12, -v18, v15, v12
	v_fmac_f16_e32 v17, v16, v18
	v_fmac_f16_e32 v14, v18, v15
	;; [unrolled: 1-line block ×3, first 2 shown]
	v_pack_b32_f16 v12, v12, v17
	v_pack_b32_f16 v4, v14, v4
	ds_write_b32 v27, v12 offset:816
	ds_write_b32 v11, v4 offset:1224
	s_and_saveexec_b32 s1, s0
	s_cbranch_execz .LBB0_20
; %bb.19:
	global_load_dword v4, v[8:9], off offset:952
	ds_read_b32 v8, v27 offset:952
	ds_read_b32 v9, v11 offset:1088
	s_waitcnt lgkmcnt(0)
	v_add_f16_e32 v12, v8, v9
	v_add_f16_sdwa v13, v9, v8 dst_sel:DWORD dst_unused:UNUSED_PAD src0_sel:WORD_1 src1_sel:WORD_1
	v_sub_f16_e32 v14, v8, v9
	v_sub_f16_sdwa v8, v8, v9 dst_sel:DWORD dst_unused:UNUSED_PAD src0_sel:WORD_1 src1_sel:WORD_1
	s_waitcnt vmcnt(0)
	v_lshrrev_b32_e32 v15, 16, v4
	v_fma_f16 v9, v14, v15, v12
	v_fma_f16 v16, v13, v15, v8
	v_fma_f16 v12, -v14, v15, v12
	v_fma_f16 v8, v13, v15, -v8
	v_fma_f16 v9, -v4, v13, v9
	v_fmac_f16_e32 v16, v14, v4
	v_fmac_f16_e32 v12, v4, v13
	;; [unrolled: 1-line block ×3, first 2 shown]
	v_pack_b32_f16 v4, v9, v16
	v_pack_b32_f16 v8, v12, v8
	ds_write_b32 v27, v4 offset:952
	ds_write_b32 v11, v8 offset:1088
.LBB0_20:
	s_or_b32 exec_lo, exec_lo, s1
	v_lshl_add_u32 v28, v3, 2, 0
	s_waitcnt lgkmcnt(0)
	s_barrier
	buffer_gl0_inv
	v_lshl_add_u32 v4, v10, 2, v28
	s_barrier
	buffer_gl0_inv
	v_mov_b32_e32 v86, 0xb964
	v_mov_b32_e32 v66, 0xbb29
	v_add_nc_u32_e32 v29, 0x400, v4
	v_mov_b32_e32 v94, 0xbbf7
	v_mov_b32_e32 v84, 0xba62
	;; [unrolled: 1-line block ×3, first 2 shown]
	ds_read2_b32 v[20:21], v4 offset0:30 offset1:60
	ds_read2_b32 v[10:11], v29 offset0:194 offset1:224
	;; [unrolled: 1-line block ×4, first 2 shown]
	ds_read_b32 v32, v27
	ds_read2_b32 v[16:17], v4 offset0:150 offset1:180
	ds_read2_b32 v[14:15], v29 offset0:74 offset1:104
	;; [unrolled: 1-line block ×4, first 2 shown]
	v_mov_b32_e32 v95, 0xb1e1
	v_mov_b32_e32 v114, 0x3bb2
	;; [unrolled: 1-line block ×8, first 2 shown]
	s_mov_b32 s4, exec_lo
	s_waitcnt lgkmcnt(0)
	s_barrier
	buffer_gl0_inv
	v_pk_add_f16 v40, v20, v11 neg_lo:[0,1] neg_hi:[0,1]
	v_pk_add_f16 v45, v11, v20
	v_pk_add_f16 v38, v21, v10 neg_lo:[0,1] neg_hi:[0,1]
	v_pk_add_f16 v36, v18, v13 neg_lo:[0,1] neg_hi:[0,1]
	v_pk_add_f16 v44, v10, v21
	v_mul_f16_sdwa v55, v40, v86 dst_sel:DWORD dst_unused:UNUSED_PAD src0_sel:WORD_1 src1_sel:DWORD
	v_mul_f16_sdwa v64, v40, v66 dst_sel:DWORD dst_unused:UNUSED_PAD src0_sel:WORD_1 src1_sel:DWORD
	;; [unrolled: 1-line block ×5, first 2 shown]
	v_fma_f16 v8, v45, 0x39e9, -v55
	v_fma_f16 v9, v45, 0x3722, -v64
	v_pk_add_f16 v43, v13, v18
	v_pk_add_f16 v34, v19, v12 neg_lo:[0,1] neg_hi:[0,1]
	v_mul_f16_sdwa v51, v36, v84 dst_sel:DWORD dst_unused:UNUSED_PAD src0_sel:WORD_1 src1_sel:DWORD
	v_fma_f16 v30, v44, 0x2de8, -v54
	v_fma_f16 v31, v44, 0xb8d2, -v63
	v_add_f16_e32 v8, v32, v8
	v_add_f16_e32 v9, v32, v9
	v_pk_add_f16 v42, v12, v19
	v_pk_add_f16 v33, v16, v15 neg_lo:[0,1] neg_hi:[0,1]
	v_mul_f16_sdwa v50, v34, v95 dst_sel:DWORD dst_unused:UNUSED_PAD src0_sel:WORD_1 src1_sel:DWORD
	v_mul_f16_sdwa v59, v34, v114 dst_sel:DWORD dst_unused:UNUSED_PAD src0_sel:WORD_1 src1_sel:DWORD
	v_fma_f16 v35, v43, 0xb8d2, -v51
	v_fma_f16 v37, v43, 0xbbdd, -v58
	v_add_f16_e32 v8, v30, v8
	v_add_f16_e32 v9, v31, v9
	v_pk_add_f16 v41, v15, v16
	v_mul_f16_sdwa v52, v33, v73 dst_sel:DWORD dst_unused:UNUSED_PAD src0_sel:WORD_1 src1_sel:DWORD
	v_fma_f16 v30, v42, 0xbbdd, -v50
	v_fma_f16 v31, v42, 0xb461, -v59
	v_add_f16_e32 v8, v35, v8
	v_add_f16_e32 v9, v37, v9
	v_mul_f16_sdwa v60, v33, v96 dst_sel:DWORD dst_unused:UNUSED_PAD src0_sel:WORD_1 src1_sel:DWORD
	v_pk_add_f16 v35, v17, v14 neg_lo:[0,1] neg_hi:[0,1]
	v_fma_f16 v39, v41, 0xbacd, -v52
	v_add_f16_e32 v8, v30, v8
	v_add_f16_e32 v9, v31, v9
	v_fma_f16 v30, v41, 0x39e9, -v60
	v_pk_add_f16 v46, v14, v17
	v_mul_f16_sdwa v49, v35, v114 dst_sel:DWORD dst_unused:UNUSED_PAD src0_sel:WORD_1 src1_sel:DWORD
	v_mul_f16_sdwa v61, v35, v97 dst_sel:DWORD dst_unused:UNUSED_PAD src0_sel:WORD_1 src1_sel:DWORD
	v_pk_add_f16 v37, v24, v23 neg_lo:[0,1] neg_hi:[0,1]
	v_add_f16_e32 v8, v39, v8
	v_add_f16_e32 v9, v30, v9
	v_fma_f16 v30, v46, 0xb461, -v49
	v_pk_add_f16 v47, v23, v24
	v_mul_f16_sdwa v53, v37, v113 dst_sel:DWORD dst_unused:UNUSED_PAD src0_sel:WORD_1 src1_sel:DWORD
	v_fma_f16 v31, v46, 0x3b76, -v61
	v_mul_f16_sdwa v57, v37, v94 dst_sel:DWORD dst_unused:UNUSED_PAD src0_sel:WORD_1 src1_sel:DWORD
	v_lshrrev_b32_e32 v88, 16, v45
	v_add_f16_e32 v8, v30, v8
	v_fma_f16 v30, v47, 0x3722, -v53
	v_add_f16_e32 v9, v31, v9
	v_fma_f16 v31, v47, 0x2de8, -v57
	v_mul_f16_e32 v70, 0x39e9, v88
	v_lshrrev_b32_e32 v90, 16, v44
	v_mul_f16_e32 v81, 0x3722, v88
	v_add_f16_e32 v8, v30, v8
	v_add_f16_e32 v30, v31, v9
	v_fmamk_f16 v31, v40, 0xb964, v70
	v_mul_f16_e32 v72, 0x2de8, v90
	v_fmamk_f16 v67, v40, 0xbb29, v81
	v_mul_f16_e32 v82, 0xb8d2, v90
	v_lshrrev_b32_e32 v92, 16, v43
	v_add_f16_sdwa v31, v32, v31 dst_sel:DWORD dst_unused:UNUSED_PAD src0_sel:WORD_1 src1_sel:DWORD
	v_fmamk_f16 v68, v38, 0xbbf7, v72
	v_add_f16_sdwa v67, v32, v67 dst_sel:DWORD dst_unused:UNUSED_PAD src0_sel:WORD_1 src1_sel:DWORD
	v_fmamk_f16 v69, v38, 0xba62, v82
	v_mul_f16_e32 v74, 0xb8d2, v92
	v_mul_f16_e32 v83, 0xbbdd, v92
	v_lshrrev_b32_e32 v93, 16, v42
	v_add_f16_e32 v31, v68, v31
	v_add_f16_e32 v67, v69, v67
	v_fmamk_f16 v68, v36, 0xba62, v74
	v_fmamk_f16 v69, v36, 0x31e1, v83
	v_mul_f16_e32 v75, 0xbbdd, v93
	v_mul_f16_e32 v78, 0xb461, v93
	v_lshrrev_b32_e32 v91, 16, v41
	v_add_f16_e32 v31, v68, v31
	v_add_f16_e32 v68, v69, v67
	v_fmamk_f16 v69, v34, 0xb1e1, v75
	v_fmamk_f16 v71, v34, 0x3bb2, v78
	v_mul_f16_e32 v67, 0xbacd, v91
	v_mul_f16_e32 v79, 0x39e9, v91
	v_lshrrev_b32_e32 v89, 16, v46
	v_pk_add_f16 v48, v22, v25
	v_add_f16_e32 v31, v69, v31
	v_add_f16_e32 v69, v71, v68
	v_fmamk_f16 v71, v33, 0x3836, v67
	v_fmamk_f16 v77, v33, 0x3964, v79
	v_mul_f16_e32 v68, 0xb461, v89
	v_mul_f16_e32 v76, 0x3b76, v89
	v_lshrrev_b32_e32 v87, 16, v47
	v_pk_add_f16 v39, v25, v22 neg_lo:[0,1] neg_hi:[0,1]
	v_add_f16_e32 v31, v71, v31
	v_add_f16_e32 v71, v77, v69
	v_fmamk_f16 v80, v35, 0x3bb2, v68
	v_fmamk_f16 v98, v35, 0xb5c8, v76
	v_mul_f16_e32 v69, 0x3722, v87
	v_mul_f16_e32 v77, 0x2de8, v87
	v_lshrrev_b32_e32 v85, 16, v48
	v_mul_f16_sdwa v56, v39, v65 dst_sel:DWORD dst_unused:UNUSED_PAD src0_sel:WORD_1 src1_sel:DWORD
	v_mul_f16_sdwa v62, v39, v115 dst_sel:DWORD dst_unused:UNUSED_PAD src0_sel:WORD_1 src1_sel:DWORD
	v_add_f16_e32 v31, v80, v31
	v_add_f16_e32 v98, v98, v71
	v_fmamk_f16 v99, v37, 0x3b29, v69
	v_fmamk_f16 v100, v37, 0xbbf7, v77
	v_mul_f16_e32 v71, 0x3b76, v85
	v_mul_f16_e32 v80, 0xbacd, v85
	v_fma_f16 v9, v48, 0x3b76, -v56
	v_fma_f16 v101, v48, 0xbacd, -v62
	v_add_f16_e32 v31, v99, v31
	v_add_f16_e32 v98, v100, v98
	v_fmamk_f16 v99, v39, 0x35c8, v71
	v_fmamk_f16 v100, v39, 0xb836, v80
	v_add_f16_e32 v9, v9, v8
	v_add_f16_e32 v8, v101, v30
	;; [unrolled: 1-line block ×4, first 2 shown]
	v_cmpx_gt_u32_e32 30, v3
	s_cbranch_execz .LBB0_22
; %bb.21:
	v_mul_f16_e32 v109, 0xbbf7, v40
	v_mul_f16_e32 v106, 0xb1e1, v38
	v_mul_f16_sdwa v102, v40, v94 dst_sel:DWORD dst_unused:UNUSED_PAD src0_sel:WORD_1 src1_sel:DWORD
	v_mul_f16_e32 v105, 0x3bb2, v36
	v_mul_f16_sdwa v100, v38, v95 dst_sel:DWORD dst_unused:UNUSED_PAD src0_sel:WORD_1 src1_sel:DWORD
	v_fmamk_f16 v98, v88, 0x2de8, v109
	v_fmamk_f16 v101, v90, 0xbbdd, v106
	v_fma_f16 v99, v45, 0x2de8, -v102
	v_mul_f16_e32 v110, 0x35c8, v34
	v_fma_f16 v107, v44, 0xbbdd, -v100
	v_add_f16_sdwa v103, v32, v98 dst_sel:DWORD dst_unused:UNUSED_PAD src0_sel:WORD_1 src1_sel:DWORD
	v_mul_f16_sdwa v98, v36, v114 dst_sel:DWORD dst_unused:UNUSED_PAD src0_sel:WORD_1 src1_sel:DWORD
	v_fmamk_f16 v108, v92, 0xb461, v105
	v_add_f16_e32 v111, v32, v99
	v_mul_f16_e32 v104, 0xbb29, v33
	v_add_f16_e32 v101, v101, v103
	v_mul_f16_sdwa v99, v34, v65 dst_sel:DWORD dst_unused:UNUSED_PAD src0_sel:WORD_1 src1_sel:DWORD
	v_fma_f16 v65, v43, 0xb461, -v98
	v_fmamk_f16 v103, v93, 0x3b76, v110
	v_add_f16_e32 v107, v107, v111
	v_add_f16_e32 v108, v108, v101
	v_mul_f16_sdwa v101, v33, v66 dst_sel:DWORD dst_unused:UNUSED_PAD src0_sel:WORD_1 src1_sel:DWORD
	v_fma_f16 v112, v42, 0x3b76, -v99
	v_fmamk_f16 v116, v91, 0x3722, v104
	v_add_f16_e32 v65, v65, v107
	v_add_f16_e32 v107, v103, v108
	v_mul_f16_e32 v111, 0xb836, v35
	v_mul_f16_sdwa v103, v35, v115 dst_sel:DWORD dst_unused:UNUSED_PAD src0_sel:WORD_1 src1_sel:DWORD
	v_fma_f16 v108, v41, 0x3722, -v101
	v_add_f16_e32 v65, v112, v65
	v_add_f16_e32 v112, v116, v107
	v_fmamk_f16 v116, v89, 0xbacd, v111
	v_mul_f16_e32 v117, 0xbbb2, v40
	v_mul_f16_e32 v107, 0x3a62, v37
	v_add_f16_e32 v65, v108, v65
	v_fma_f16 v108, v46, 0xbacd, -v103
	v_add_f16_e32 v112, v116, v112
	v_mov_b32_e32 v116, 0x3a62
	v_fmamk_f16 v118, v88, 0xb461, v117
	v_mul_f16_e32 v119, 0x3836, v38
	v_fmamk_f16 v120, v87, 0xb8d2, v107
	v_add_f16_e32 v65, v108, v65
	v_mul_f16_sdwa v108, v37, v116 dst_sel:DWORD dst_unused:UNUSED_PAD src0_sel:WORD_1 src1_sel:DWORD
	v_add_f16_sdwa v118, v32, v118 dst_sel:DWORD dst_unused:UNUSED_PAD src0_sel:WORD_1 src1_sel:DWORD
	v_fmamk_f16 v121, v90, 0xbacd, v119
	v_mul_f16_e32 v122, 0x3964, v36
	v_add_f16_e32 v120, v120, v112
	v_fma_f16 v123, v47, 0xb8d2, -v108
	v_mul_f16_e32 v112, 0x3964, v39
	v_add_f16_e32 v118, v121, v118
	v_mov_b32_e32 v121, 0xbbb2
	v_fmamk_f16 v124, v92, 0x39e9, v122
	v_mul_f16_e32 v125, 0xbb29, v34
	v_add_f16_e32 v123, v123, v65
	v_fmamk_f16 v65, v85, 0x39e9, v112
	v_mul_f16_sdwa v126, v40, v121 dst_sel:DWORD dst_unused:UNUSED_PAD src0_sel:WORD_1 src1_sel:DWORD
	v_add_f16_e32 v118, v124, v118
	v_fmamk_f16 v124, v93, 0x3722, v125
	v_mul_f16_e32 v127, 0xb1e1, v33
	v_add_f16_e32 v65, v65, v120
	v_fma_f16 v120, v45, 0xb461, -v126
	v_mul_f16_sdwa v128, v38, v73 dst_sel:DWORD dst_unused:UNUSED_PAD src0_sel:WORD_1 src1_sel:DWORD
	v_add_f16_e32 v73, v124, v118
	v_fmamk_f16 v118, v91, 0xbbdd, v127
	v_mul_f16_e32 v124, 0x3bf7, v35
	v_add_f16_e32 v120, v32, v120
	v_fma_f16 v129, v44, 0xbacd, -v128
	v_mul_f16_sdwa v130, v36, v96 dst_sel:DWORD dst_unused:UNUSED_PAD src0_sel:WORD_1 src1_sel:DWORD
	v_add_f16_e32 v73, v118, v73
	v_fmamk_f16 v118, v89, 0x2de8, v124
	v_mul_f16_sdwa v131, v39, v96 dst_sel:DWORD dst_unused:UNUSED_PAD src0_sel:WORD_1 src1_sel:DWORD
	v_add_f16_e32 v120, v129, v120
	v_fma_f16 v129, v43, 0x39e9, -v130
	v_mul_f16_sdwa v132, v34, v66 dst_sel:DWORD dst_unused:UNUSED_PAD src0_sel:WORD_1 src1_sel:DWORD
	v_add_f16_e32 v73, v118, v73
	v_mul_f16_e32 v118, 0xb5c8, v37
	v_fma_f16 v66, v48, 0x39e9, -v131
	v_add_f16_e32 v120, v129, v120
	v_fma_f16 v129, v42, 0x3722, -v132
	v_mul_f16_sdwa v133, v33, v95 dst_sel:DWORD dst_unused:UNUSED_PAD src0_sel:WORD_1 src1_sel:DWORD
	v_mov_b32_e32 v134, 0x3bf7
	v_fmamk_f16 v135, v87, 0x3b76, v118
	v_add_f16_e32 v66, v66, v123
	v_add_f16_e32 v120, v129, v120
	v_fma_f16 v123, v41, 0xbbdd, -v133
	v_mul_f16_sdwa v129, v35, v134 dst_sel:DWORD dst_unused:UNUSED_PAD src0_sel:WORD_1 src1_sel:DWORD
	v_add_f16_e32 v73, v135, v73
	v_mul_f16_e32 v135, 0xba62, v39
	v_mul_f16_e32 v136, 0xba62, v40
	v_add_f16_e32 v120, v123, v120
	v_fma_f16 v123, v46, 0x2de8, -v129
	v_mul_f16_sdwa v137, v37, v97 dst_sel:DWORD dst_unused:UNUSED_PAD src0_sel:WORD_1 src1_sel:DWORD
	v_fmamk_f16 v138, v85, 0xb8d2, v135
	v_fmamk_f16 v139, v88, 0xb8d2, v136
	v_mul_f16_e32 v140, 0x3bb2, v38
	v_add_f16_e32 v120, v123, v120
	v_fma_f16 v123, v47, 0x3b76, -v137
	v_add_f16_e32 v73, v138, v73
	v_add_f16_sdwa v138, v32, v139 dst_sel:DWORD dst_unused:UNUSED_PAD src0_sel:WORD_1 src1_sel:DWORD
	v_fmamk_f16 v139, v90, 0xb461, v140
	v_mul_f16_e32 v141, 0xb5c8, v36
	v_mul_f16_sdwa v142, v40, v84 dst_sel:DWORD dst_unused:UNUSED_PAD src0_sel:WORD_1 src1_sel:DWORD
	v_add_f16_e32 v120, v123, v120
	v_mul_f16_sdwa v123, v39, v84 dst_sel:DWORD dst_unused:UNUSED_PAD src0_sel:WORD_1 src1_sel:DWORD
	v_add_f16_e32 v84, v139, v138
	v_fmamk_f16 v138, v92, 0x3b76, v141
	v_mul_f16_e32 v139, 0xb836, v34
	v_fma_f16 v144, v45, 0xb8d2, -v142
	v_mul_f16_sdwa v114, v38, v114 dst_sel:DWORD dst_unused:UNUSED_PAD src0_sel:WORD_1 src1_sel:DWORD
	v_mul_f16_e32 v145, 0x3bf7, v33
	v_add_f16_e32 v84, v138, v84
	v_fmamk_f16 v138, v93, 0xbacd, v139
	v_add_f16_e32 v144, v32, v144
	v_fma_f16 v146, v44, 0xb461, -v114
	v_mul_f16_sdwa v147, v36, v97 dst_sel:DWORD dst_unused:UNUSED_PAD src0_sel:WORD_1 src1_sel:DWORD
	v_mul_f16_e32 v148, 0xb964, v35
	v_add_f16_e32 v84, v138, v84
	v_fmamk_f16 v138, v91, 0x2de8, v145
	v_add_f16_e32 v144, v146, v144
	v_fma_f16 v146, v43, 0x3b76, -v147
	v_mul_f16_sdwa v149, v34, v115 dst_sel:DWORD dst_unused:UNUSED_PAD src0_sel:WORD_1 src1_sel:DWORD
	v_fma_f16 v143, v48, 0xb8d2, -v123
	v_add_f16_e32 v84, v138, v84
	v_fmamk_f16 v138, v89, 0x39e9, v148
	v_add_f16_e32 v144, v146, v144
	v_fma_f16 v146, v42, 0xbacd, -v149
	v_mul_f16_sdwa v134, v33, v134 dst_sel:DWORD dst_unused:UNUSED_PAD src0_sel:WORD_1 src1_sel:DWORD
	v_mul_f16_e32 v152, 0xb836, v40
	v_mul_f16_e32 v150, 0xb1e1, v37
	v_add_f16_e32 v138, v138, v84
	v_add_f16_e32 v84, v143, v120
	;; [unrolled: 1-line block ×3, first 2 shown]
	v_fma_f16 v143, v41, 0x2de8, -v134
	v_mul_f16_sdwa v144, v35, v86 dst_sel:DWORD dst_unused:UNUSED_PAD src0_sel:WORD_1 src1_sel:DWORD
	v_fmamk_f16 v86, v88, 0xbacd, v152
	v_mul_f16_e32 v146, 0x3b29, v38
	v_fmamk_f16 v151, v87, 0xbbdd, v150
	v_add_f16_e32 v120, v143, v120
	v_mul_f16_e32 v153, 0xbbf7, v36
	v_add_f16_sdwa v86, v32, v86 dst_sel:DWORD dst_unused:UNUSED_PAD src0_sel:WORD_1 src1_sel:DWORD
	v_fmamk_f16 v143, v90, 0x3722, v146
	v_add_f16_e32 v138, v151, v138
	v_mul_f16_e32 v151, 0x3b29, v39
	v_fma_f16 v154, v46, 0x39e9, -v144
	v_mul_f16_sdwa v155, v37, v95 dst_sel:DWORD dst_unused:UNUSED_PAD src0_sel:WORD_1 src1_sel:DWORD
	v_add_f16_e32 v86, v143, v86
	v_fmamk_f16 v143, v92, 0x2de8, v153
	v_mul_f16_e32 v157, 0x3a62, v34
	v_fmamk_f16 v156, v85, 0x3722, v151
	v_add_f16_e32 v120, v154, v120
	v_fma_f16 v154, v47, 0xbbdd, -v155
	v_add_f16_e32 v143, v143, v86
	v_fmamk_f16 v159, v93, 0xb8d2, v157
	v_mul_f16_e32 v160, 0xb5c8, v33
	v_add_f16_e32 v86, v156, v138
	v_add_f16_e32 v120, v154, v120
	v_mul_f16_sdwa v115, v40, v115 dst_sel:DWORD dst_unused:UNUSED_PAD src0_sel:WORD_1 src1_sel:DWORD
	v_add_f16_e32 v138, v159, v143
	v_fmamk_f16 v143, v91, 0x3b76, v160
	v_mul_f16_e32 v154, 0xb1e1, v35
	v_mul_f16_sdwa v158, v39, v113 dst_sel:DWORD dst_unused:UNUSED_PAD src0_sel:WORD_1 src1_sel:DWORD
	v_fma_f16 v159, v45, 0xbacd, -v115
	v_mul_f16_sdwa v113, v38, v113 dst_sel:DWORD dst_unused:UNUSED_PAD src0_sel:WORD_1 src1_sel:DWORD
	v_add_f16_e32 v138, v143, v138
	v_fmamk_f16 v143, v89, 0xbbdd, v154
	v_mul_f16_e32 v161, 0x3964, v37
	v_fma_f16 v156, v48, 0x3722, -v158
	v_add_f16_e32 v159, v32, v159
	v_fma_f16 v162, v44, 0x3722, -v113
	v_mul_f16_sdwa v163, v36, v94 dst_sel:DWORD dst_unused:UNUSED_PAD src0_sel:WORD_1 src1_sel:DWORD
	v_add_f16_e32 v138, v143, v138
	v_fmamk_f16 v143, v87, 0x39e9, v161
	v_add_f16_e32 v94, v156, v120
	v_add_f16_e32 v120, v162, v159
	v_fma_f16 v156, v43, 0x2de8, -v163
	v_mul_f16_sdwa v116, v34, v116 dst_sel:DWORD dst_unused:UNUSED_PAD src0_sel:WORD_1 src1_sel:DWORD
	v_add_f16_e32 v138, v143, v138
	v_fma_f16 v143, v88, 0xbacd, -v152
	v_mul_f16_e32 v152, 0xbbb2, v39
	v_add_f16_e32 v120, v156, v120
	v_fma_f16 v156, v42, 0xb8d2, -v116
	v_mul_f16_sdwa v97, v33, v97 dst_sel:DWORD dst_unused:UNUSED_PAD src0_sel:WORD_1 src1_sel:DWORD
	v_add_f16_sdwa v143, v32, v143 dst_sel:DWORD dst_unused:UNUSED_PAD src0_sel:WORD_1 src1_sel:DWORD
	v_fma_f16 v146, v90, 0x3722, -v146
	v_fmamk_f16 v159, v85, 0xb461, v152
	v_add_f16_e32 v120, v156, v120
	v_fma_f16 v156, v41, 0x3b76, -v97
	v_mul_f16_sdwa v162, v35, v95 dst_sel:DWORD dst_unused:UNUSED_PAD src0_sel:WORD_1 src1_sel:DWORD
	v_add_f16_e32 v143, v146, v143
	v_fma_f16 v146, v92, 0x2de8, -v153
	v_fmac_f16_e32 v115, 0xbacd, v45
	v_add_f16_e32 v95, v159, v138
	v_add_f16_e32 v120, v156, v120
	v_fma_f16 v138, v46, 0xbbdd, -v162
	v_add_f16_e32 v143, v146, v143
	v_fma_f16 v146, v93, 0xb8d2, -v157
	v_add_f16_e32 v115, v32, v115
	v_fmac_f16_e32 v113, 0x3722, v44
	v_mul_f16_sdwa v153, v37, v96 dst_sel:DWORD dst_unused:UNUSED_PAD src0_sel:WORD_1 src1_sel:DWORD
	v_add_f16_e32 v96, v138, v120
	v_add_f16_e32 v120, v146, v143
	v_fma_f16 v138, v91, 0x3b76, -v160
	v_add_f16_e32 v113, v113, v115
	v_fma_f16 v115, v47, 0x39e9, -v153
	v_mul_f16_sdwa v121, v39, v121 dst_sel:DWORD dst_unused:UNUSED_PAD src0_sel:WORD_1 src1_sel:DWORD
	v_fmac_f16_e32 v163, 0x2de8, v43
	v_add_f16_e32 v120, v138, v120
	v_fma_f16 v138, v89, 0xbbdd, -v154
	v_add_f16_e32 v96, v115, v96
	v_fma_f16 v115, v48, 0xb461, -v121
	v_add_f16_e32 v113, v163, v113
	v_fmac_f16_e32 v116, 0xb8d2, v42
	v_add_f16_e32 v120, v138, v120
	v_fma_f16 v138, v87, 0x39e9, -v161
	v_add_f16_e32 v96, v115, v96
	v_fma_f16 v115, v88, 0xb8d2, -v136
	v_add_f16_e32 v113, v116, v113
	v_fmac_f16_e32 v97, 0x3b76, v41
	v_add_f16_e32 v116, v138, v120
	v_fma_f16 v120, v85, 0xb461, -v152
	v_add_f16_sdwa v115, v32, v115 dst_sel:DWORD dst_unused:UNUSED_PAD src0_sel:WORD_1 src1_sel:DWORD
	v_fma_f16 v136, v90, 0xb461, -v140
	v_add_f16_e32 v97, v97, v113
	v_fma_f16 v117, v88, 0xb461, -v117
	v_add_f16_e32 v113, v120, v116
	;; [unrolled: 2-line block ×3, first 2 shown]
	v_fma_f16 v119, v90, 0xbacd, -v119
	v_add_f16_sdwa v117, v32, v117 dst_sel:DWORD dst_unused:UNUSED_PAD src0_sel:WORD_1 src1_sel:DWORD
	v_fmac_f16_e32 v102, 0x2de8, v45
	v_fma_f16 v88, v88, 0x2de8, -v109
	v_add_f16_e32 v115, v116, v115
	v_fma_f16 v116, v93, 0xbacd, -v139
	v_add_f16_e32 v117, v119, v117
	v_fma_f16 v119, v92, 0x39e9, -v122
	v_fma_f16 v109, v89, 0x2de8, -v124
	v_add_f16_e32 v102, v32, v102
	v_add_f16_e32 v115, v116, v115
	v_fma_f16 v116, v91, 0x2de8, -v145
	v_add_f16_e32 v117, v119, v117
	v_fma_f16 v119, v93, 0x3722, -v125
	v_fmac_f16_e32 v100, 0xbbdd, v44
	v_fmac_f16_e32 v142, 0xb8d2, v45
	v_add_f16_e32 v115, v116, v115
	v_fma_f16 v116, v89, 0x39e9, -v148
	v_fma_f16 v90, v90, 0xbbdd, -v106
	v_add_f16_sdwa v88, v32, v88 dst_sel:DWORD dst_unused:UNUSED_PAD src0_sel:WORD_1 src1_sel:DWORD
	v_add_f16_e32 v100, v100, v102
	v_fmac_f16_e32 v98, 0xb461, v43
	v_add_f16_e32 v115, v116, v115
	v_fma_f16 v116, v87, 0xbbdd, -v150
	v_add_f16_e32 v120, v32, v142
	v_fmac_f16_e32 v114, 0xb461, v44
	v_fmac_f16_e32 v126, 0xb461, v45
	v_add_f16_e32 v88, v90, v88
	v_add_f16_e32 v115, v116, v115
	v_fma_f16 v116, v85, 0x3722, -v151
	v_fma_f16 v90, v92, 0xb461, -v105
	v_add_f16_e32 v98, v98, v100
	v_fmac_f16_e32 v99, 0x3b76, v42
	v_add_f16_e32 v114, v114, v120
	v_add_f16_e32 v115, v116, v115
	;; [unrolled: 1-line block ×3, first 2 shown]
	v_fma_f16 v117, v91, 0xbbdd, -v127
	v_fmac_f16_e32 v147, 0x3b76, v43
	v_add_f16_e32 v119, v32, v126
	v_fmac_f16_e32 v128, 0xbacd, v44
	v_add_f16_e32 v88, v90, v88
	v_add_f16_e32 v116, v117, v116
	v_fma_f16 v90, v93, 0x3b76, -v110
	v_mul_f16_e32 v100, 0xba62, v38
	v_add_f16_e32 v98, v99, v98
	v_fmac_f16_e32 v101, 0x3722, v41
	v_add_f16_e32 v106, v109, v116
	v_fma_f16 v109, v87, 0x3b76, -v118
	v_add_f16_e32 v114, v147, v114
	v_fmac_f16_e32 v149, 0xbacd, v42
	v_add_f16_e32 v117, v128, v119
	v_fmac_f16_e32 v130, 0x39e9, v43
	v_add_f16_e32 v92, v109, v106
	v_mul_f16_e32 v109, 0xbb29, v40
	v_add_f16_e32 v88, v90, v88
	v_fma_f16 v91, v91, 0x3722, -v104
	v_mul_f16_e32 v104, 0x3722, v45
	v_fma_f16 v87, v87, 0xb8d2, -v107
	v_sub_f16_e32 v81, v81, v109
	v_mul_f16_e32 v107, 0x31e1, v36
	v_add_f16_e32 v98, v101, v98
	v_fmac_f16_e32 v103, 0xbacd, v46
	v_sub_f16_e32 v82, v82, v100
	v_add_f16_sdwa v81, v32, v81 dst_sel:DWORD dst_unused:UNUSED_PAD src0_sel:WORD_1 src1_sel:DWORD
	v_add_f16_e32 v114, v149, v114
	v_fmac_f16_e32 v134, 0x2de8, v41
	v_add_f16_e32 v116, v130, v117
	v_fmac_f16_e32 v132, 0x3722, v42
	v_add_f16_e32 v88, v91, v88
	v_fma_f16 v89, v89, 0xbacd, -v111
	v_mul_f16_e32 v110, 0xb8d2, v44
	v_add_f16_e32 v98, v103, v98
	v_mul_f16_e32 v103, 0x3bb2, v34
	v_fmac_f16_e32 v108, 0xb8d2, v47
	v_add_f16_e32 v81, v82, v81
	v_sub_f16_e32 v83, v83, v107
	v_add_f16_e32 v64, v104, v64
	v_add_f16_e32 v114, v134, v114
	v_fmac_f16_e32 v144, 0x39e9, v46
	v_fma_f16 v105, v85, 0xb8d2, -v135
	v_add_f16_e32 v106, v132, v116
	v_fmac_f16_e32 v133, 0xbbdd, v41
	v_mul_f16_e32 v90, 0xb964, v40
	v_add_f16_e32 v88, v89, v88
	v_mul_f16_e32 v99, 0xbbdd, v43
	v_add_f16_e32 v98, v108, v98
	;; [unrolled: 2-line block ×3, first 2 shown]
	v_sub_f16_e32 v78, v78, v103
	v_add_f16_e32 v63, v110, v63
	v_add_f16_e32 v64, v32, v64
	v_pk_add_f16 v20, v32, v20
	v_add_f16_e32 v114, v144, v114
	v_fmac_f16_e32 v155, 0xbbdd, v47
	v_add_f16_e32 v92, v105, v92
	v_add_f16_e32 v105, v133, v106
	v_mul_f16_e32 v106, 0x39e9, v45
	v_mul_f16_e32 v102, 0xbbf7, v38
	v_add_f16_e32 v87, v87, v88
	v_mul_f16_e32 v88, 0xb461, v42
	v_mul_f16_e32 v116, 0xb5c8, v35
	v_add_f16_e32 v78, v78, v81
	v_sub_f16_e32 v79, v79, v108
	v_add_f16_e32 v63, v63, v64
	v_sub_f16_e32 v70, v70, v90
	v_add_f16_e32 v58, v99, v58
	v_pk_add_f16 v20, v20, v21
	v_add_f16_e32 v114, v155, v114
	v_fmac_f16_e32 v158, 0x3722, v48
	v_mul_f16_e32 v91, 0x2de8, v44
	v_mul_f16_e32 v89, 0xba62, v36
	v_fma_f16 v85, v85, 0x39e9, -v112
	v_mul_f16_e32 v112, 0x39e9, v41
	v_mul_f16_e32 v110, 0xbbf7, v37
	v_add_f16_e32 v78, v79, v78
	v_sub_f16_e32 v76, v76, v116
	v_add_f16_sdwa v70, v32, v70 dst_sel:DWORD dst_unused:UNUSED_PAD src0_sel:WORD_1 src1_sel:DWORD
	v_sub_f16_e32 v72, v72, v102
	v_add_f16_e32 v58, v58, v63
	v_add_f16_e32 v59, v88, v59
	;; [unrolled: 1-line block ×3, first 2 shown]
	v_pk_add_f16 v18, v20, v18
	v_add_f16_e32 v93, v158, v114
	v_mul_f16_e32 v111, 0xb8d2, v43
	v_mul_f16_e32 v114, 0xb1e1, v34
	v_add_f16_e32 v85, v85, v87
	v_mul_f16_e32 v87, 0x3b76, v46
	v_mul_f16_e32 v90, 0xb836, v39
	v_add_f16_e32 v63, v76, v78
	v_sub_f16_e32 v76, v77, v110
	v_add_f16_e32 v70, v72, v70
	v_sub_f16_e32 v72, v74, v89
	v_add_f16_e32 v58, v59, v58
	v_add_f16_e32 v59, v112, v60
	;; [unrolled: 1-line block ×4, first 2 shown]
	v_pk_add_f16 v18, v18, v19
	v_mul_f16_e32 v101, 0xbbdd, v42
	v_mul_f16_e32 v100, 0x3836, v33
	v_mul_f16_e32 v103, 0x2de8, v47
	v_add_f16_e32 v60, v76, v63
	v_sub_f16_e32 v63, v80, v90
	v_add_f16_e32 v70, v72, v70
	v_sub_f16_e32 v72, v75, v114
	v_add_f16_e32 v58, v59, v58
	v_add_f16_e32 v59, v87, v61
	v_add_f16_e32 v19, v20, v55
	v_add_f16_e32 v20, v111, v51
	v_pk_add_f16 v16, v18, v16
	v_mul_f16_e32 v109, 0xbacd, v41
	v_mul_f16_e32 v107, 0x3bb2, v35
	;; [unrolled: 1-line block ×3, first 2 shown]
	v_add_f16_e32 v60, v63, v60
	v_add_f16_e32 v61, v72, v70
	v_sub_f16_e32 v63, v67, v100
	v_add_f16_e32 v58, v59, v58
	v_add_f16_e32 v21, v103, v57
	;; [unrolled: 1-line block ×4, first 2 shown]
	v_pk_add_f16 v16, v16, v17
	v_pk_mul_f16 v17, 0xb5c8, v40 op_sel_hi:[0,1]
	v_mul_f16_e32 v82, 0xb461, v46
	v_mul_f16_e32 v104, 0x3b29, v37
	v_add_f16_e32 v57, v63, v61
	v_sub_f16_e32 v59, v68, v107
	v_add_f16_e32 v21, v21, v58
	v_add_f16_e32 v51, v64, v62
	;; [unrolled: 1-line block ×4, first 2 shown]
	v_pk_add_f16 v16, v16, v24
	v_pk_fma_f16 v24, 0x3b76, v45, v17 op_sel:[0,0,1] op_sel_hi:[0,1,0]
	v_pk_fma_f16 v17, 0x3b76, v45, v17 op_sel:[0,0,1] op_sel_hi:[0,1,0] neg_lo:[0,0,1] neg_hi:[0,0,1]
	v_pk_mul_f16 v50, 0xb964, v38 op_sel_hi:[0,1]
	v_mul_f16_e32 v108, 0x35c8, v39
	v_add_f16_e32 v54, v59, v57
	v_sub_f16_e32 v57, v69, v104
	v_add_f16_e32 v21, v51, v21
	v_add_f16_e32 v19, v20, v19
	;; [unrolled: 1-line block ×3, first 2 shown]
	v_pk_add_f16 v16, v16, v25
	v_bfi_b32 v25, 0xffff, v24, v17
	v_pk_fma_f16 v49, 0x39e9, v44, v50 op_sel:[0,0,1] op_sel_hi:[0,1,0]
	v_pk_fma_f16 v50, 0x39e9, v44, v50 op_sel:[0,0,1] op_sel_hi:[0,1,0] neg_lo:[0,0,1] neg_hi:[0,0,1]
	v_pk_mul_f16 v51, 0xbb29, v36 op_sel_hi:[0,1]
	v_mul_f16_e32 v83, 0x3722, v47
	v_add_f16_e32 v54, v57, v54
	v_sub_f16_e32 v18, v71, v108
	v_add_f16_e32 v19, v20, v19
	v_pk_add_f16 v16, v16, v22
	v_pk_add_f16 v20, v32, v25
	v_bfi_b32 v22, 0xffff, v49, v50
	v_pk_fma_f16 v25, 0x3722, v43, v51 op_sel:[0,0,1] op_sel_hi:[0,1,0]
	v_pk_fma_f16 v51, 0x3722, v43, v51 op_sel:[0,0,1] op_sel_hi:[0,1,0] neg_lo:[0,0,1] neg_hi:[0,0,1]
	v_pk_mul_f16 v52, 0xbbf7, v34 op_sel_hi:[0,1]
	v_add_f16_e32 v18, v18, v54
	v_add_f16_e32 v53, v83, v53
	v_pk_add_f16 v16, v16, v23
	v_pk_add_f16 v20, v22, v20
	v_bfi_b32 v22, 0xffff, v25, v51
	v_pk_fma_f16 v23, 0x2de8, v42, v52 op_sel:[0,0,1] op_sel_hi:[0,1,0]
	v_pk_fma_f16 v52, 0x2de8, v42, v52 op_sel:[0,0,1] op_sel_hi:[0,1,0] neg_lo:[0,0,1] neg_hi:[0,0,1]
	v_pk_mul_f16 v54, 0xbbb2, v33 op_sel_hi:[0,1]
	v_mul_f16_e32 v81, 0x3b76, v48
	v_add_f16_e32 v19, v53, v19
	v_pk_add_f16 v14, v16, v14
	v_pk_add_f16 v16, v22, v20
	v_bfi_b32 v20, 0xffff, v23, v52
	v_pk_fma_f16 v22, 0xb461, v41, v54 op_sel:[0,0,1] op_sel_hi:[0,1,0]
	v_pk_fma_f16 v53, 0xb461, v41, v54 op_sel:[0,0,1] op_sel_hi:[0,1,0] neg_lo:[0,0,1] neg_hi:[0,0,1]
	v_pk_mul_f16 v54, 0xba62, v35 op_sel_hi:[0,1]
	v_add_f16_e32 v55, v81, v56
	v_pk_add_f16 v14, v14, v15
	v_pk_add_f16 v15, v20, v16
	v_bfi_b32 v16, 0xffff, v22, v53
	v_pk_fma_f16 v20, 0xb8d2, v46, v54 op_sel:[0,0,1] op_sel_hi:[0,1,0]
	v_pk_fma_f16 v54, 0xb8d2, v46, v54 op_sel:[0,0,1] op_sel_hi:[0,1,0] neg_lo:[0,0,1] neg_hi:[0,0,1]
	v_pk_mul_f16 v56, 0xb836, v37 op_sel_hi:[0,1]
	v_pk_mul_f16 v57, 0xb1e1, v39 op_sel_hi:[0,1]
	v_pk_add_f16 v12, v14, v12
	v_pk_add_f16 v14, v16, v15
	v_bfi_b32 v15, 0xffff, v20, v54
	v_pk_fma_f16 v16, 0xbacd, v47, v56 op_sel:[0,0,1] op_sel_hi:[0,1,0]
	v_pk_fma_f16 v56, 0xbacd, v47, v56 op_sel:[0,0,1] op_sel_hi:[0,1,0] neg_lo:[0,0,1] neg_hi:[0,0,1]
	v_fmac_f16_e32 v129, 0x2de8, v46
	v_pk_add_f16 v12, v12, v13
	v_pk_mul_f16 v13, 0xbbdd, v45 op_sel_hi:[0,1]
	v_pk_add_f16 v14, v15, v14
	v_bfi_b32 v15, 0xffff, v16, v56
	v_pk_fma_f16 v45, 0xbbdd, v48, v57 op_sel:[0,0,1] op_sel_hi:[0,1,0]
	v_pk_fma_f16 v57, 0xbbdd, v48, v57 op_sel:[0,0,1] op_sel_hi:[0,1,0] neg_lo:[0,0,1] neg_hi:[0,0,1]
	v_add_f16_e32 v105, v129, v105
	v_fmac_f16_e32 v137, 0x3b76, v47
	v_mul_u32_u24_e32 v58, 0x44, v3
	v_pk_add_f16 v10, v12, v10
	v_pk_add_f16 v12, v15, v14
	v_bfi_b32 v14, 0xffff, v45, v57
	v_add_f16_e32 v105, v137, v105
	v_fmac_f16_e32 v123, 0xb8d2, v48
	v_fmac_f16_e32 v131, 0x39e9, v48
	v_add3_u32 v58, 0, v58, v26
	v_pk_add_f16 v10, v10, v11
	v_pk_add_f16 v11, v14, v12
	v_add_f16_e32 v19, v55, v19
	v_add_f16_e32 v105, v123, v105
	v_add_f16_e32 v98, v131, v98
	v_pk_fma_f16 v59, 0xb1e1, v40, v13 op_sel:[0,0,1] op_sel_hi:[0,1,0]
	v_alignbit_b32 v61, s0, v32, 16
	v_pk_mul_f16 v44, 0x3b76, v44 op_sel_hi:[0,1]
	ds_write2_b32 v58, v10, v11 offset1:1
	v_pack_b32_f16 v10, v21, v60
	v_pack_b32_f16 v18, v19, v18
	v_pk_mul_f16 v21, 0xb8d2, v41 op_sel_hi:[0,1]
	v_pack_b32_f16 v19, v105, v92
	v_pack_b32_f16 v41, v98, v85
	v_pk_add_f16 v15, v61, v59
	v_pk_fma_f16 v61, 0x35c8, v38, v44 op_sel:[0,0,1] op_sel_hi:[0,1,0]
	v_pk_mul_f16 v43, 0xbacd, v43 op_sel_hi:[0,1]
	ds_write2_b32 v58, v18, v10 offset0:2 offset1:3
	ds_write2_b32 v58, v41, v19 offset0:4 offset1:5
	v_pk_fma_f16 v13, 0xb1e1, v40, v13 op_sel:[0,0,1] op_sel_hi:[0,1,0] neg_lo:[0,1,0] neg_hi:[0,1,0]
	v_alignbit_b32 v41, s0, v59, 16
	v_pk_add_f16 v12, v61, v15
	v_pk_fma_f16 v14, 0xb836, v36, v43 op_sel:[0,0,1] op_sel_hi:[0,1,0]
	v_pk_mul_f16 v15, 0x39e9, v42 op_sel_hi:[0,1]
	v_pk_add_f16 v13, v32, v13 op_sel:[1,0] op_sel_hi:[0,1]
	v_pk_fma_f16 v38, 0x35c8, v38, v44 op_sel:[0,0,1] op_sel_hi:[0,1,0] neg_lo:[0,1,0] neg_hi:[0,1,0]
	v_pk_add_f16 v41, v32, v41
	v_alignbit_b32 v44, s0, v61, 16
	v_pk_add_f16 v11, v14, v12
	v_pk_fma_f16 v12, 0x3964, v34, v15 op_sel:[0,0,1] op_sel_hi:[0,1,0]
	v_pk_add_f16 v13, v38, v13
	v_pk_fma_f16 v36, 0xb836, v36, v43 op_sel:[0,0,1] op_sel_hi:[0,1,0] neg_lo:[0,1,0] neg_hi:[0,1,0]
	v_pk_add_f16 v38, v44, v41
	v_alignbit_b32 v14, s0, v14, 16
	v_bfi_b32 v17, 0xffff, v17, v24
	v_fmac_f16_e32 v162, 0xbbdd, v46
	v_pk_add_f16 v11, v12, v11
	v_pk_fma_f16 v42, 0xba62, v33, v21 op_sel:[0,0,1] op_sel_hi:[0,1,0]
	v_pk_mul_f16 v46, 0x3722, v46 op_sel_hi:[0,1]
	v_pk_add_f16 v13, v36, v13
	v_pk_fma_f16 v15, 0x3964, v34, v15 op_sel:[0,0,1] op_sel_hi:[0,1,0] neg_lo:[0,1,0] neg_hi:[0,1,0]
	v_pk_add_f16 v14, v14, v38
	v_alignbit_b32 v12, s0, v12, 16
	v_pk_add_f16 v17, v32, v17
	v_bfi_b32 v24, 0xffff, v50, v49
	v_add_f16_e32 v97, v162, v97
	v_fmac_f16_e32 v153, 0x39e9, v47
	v_pk_add_f16 v11, v42, v11
	v_pk_fma_f16 v18, 0x3b29, v35, v46 op_sel:[0,0,1] op_sel_hi:[0,1,0]
	v_pk_mul_f16 v19, 0xb461, v47 op_sel_hi:[0,1]
	v_pk_add_f16 v13, v15, v13
	v_pk_fma_f16 v15, 0xba62, v33, v21 op_sel:[0,0,1] op_sel_hi:[0,1,0] neg_lo:[0,1,0] neg_hi:[0,1,0]
	v_pk_add_f16 v12, v12, v14
	v_alignbit_b32 v14, s0, v42, 16
	v_pk_add_f16 v17, v24, v17
	v_bfi_b32 v21, 0xffff, v51, v25
	v_add_f16_e32 v97, v153, v97
	v_fmac_f16_e32 v121, 0xb461, v48
	v_pk_add_f16 v11, v18, v11
	v_pk_fma_f16 v47, 0xbbb2, v37, v19 op_sel:[0,0,1] op_sel_hi:[0,1,0]
	v_pk_mul_f16 v48, 0x2de8, v48 op_sel_hi:[0,1]
	v_pk_add_f16 v12, v14, v12
	v_alignbit_b32 v14, s0, v18, 16
	v_pk_add_f16 v17, v21, v17
	v_bfi_b32 v18, 0xffff, v52, v23
	v_pk_add_f16 v13, v15, v13
	v_pk_fma_f16 v15, 0x3b29, v35, v46 op_sel:[0,0,1] op_sel_hi:[0,1,0] neg_lo:[0,1,0] neg_hi:[0,1,0]
	v_add_f16_e32 v97, v121, v97
	v_pk_fma_f16 v41, 0x3bf7, v39, v48 op_sel:[0,0,1] op_sel_hi:[0,1,0]
	v_pk_add_f16 v12, v14, v12
	v_alignbit_b32 v14, s0, v47, 16
	v_pk_add_f16 v17, v18, v17
	v_bfi_b32 v18, 0xffff, v53, v22
	v_pk_add_f16 v13, v15, v13
	v_pk_fma_f16 v15, 0xbbb2, v37, v19 op_sel:[0,0,1] op_sel_hi:[0,1,0] neg_lo:[0,1,0] neg_hi:[0,1,0]
	v_pack_b32_f16 v10, v97, v113
	v_pack_b32_f16 v40, v93, v115
	v_pk_add_f16 v12, v14, v12
	v_alignbit_b32 v14, s0, v41, 16
	v_pk_add_f16 v17, v18, v17
	v_bfi_b32 v18, 0xffff, v54, v20
	v_pk_add_f16 v11, v47, v11
	v_pk_add_f16 v13, v15, v13
	v_pk_fma_f16 v15, 0x3bf7, v39, v48 op_sel:[0,0,1] op_sel_hi:[0,1,0] neg_lo:[0,1,0] neg_hi:[0,1,0]
	v_pk_add_f16 v12, v14, v12
	ds_write2_b32 v58, v40, v10 offset0:6 offset1:7
	v_pk_add_f16 v10, v18, v17
	v_bfi_b32 v14, 0xffff, v56, v16
	v_pk_add_f16 v11, v41, v11
	v_pk_add_f16 v13, v15, v13
	v_pack_b32_f16 v15, v96, v95
	v_pack_b32_f16 v16, v66, v65
	v_pk_add_f16 v10, v14, v10
	v_bfi_b32 v14, 0xffff, v57, v45
	v_alignbit_b32 v11, v11, v13, 16
	v_pack_b32_f16 v12, v12, v13
	v_pack_b32_f16 v13, v94, v86
	v_pack_b32_f16 v17, v84, v73
	v_perm_b32 v18, v31, v9, 0x5040100
	v_perm_b32 v19, v30, v8, 0x5040100
	v_pk_add_f16 v10, v14, v10
	ds_write2_b32 v58, v12, v11 offset0:8 offset1:9
	ds_write2_b32 v58, v15, v13 offset0:10 offset1:11
	;; [unrolled: 1-line block ×4, first 2 shown]
	ds_write_b32 v58, v10 offset:64
.LBB0_22:
	s_or_b32 exec_lo, exec_lo, s4
	v_add_nc_u32_e32 v10, 0x200, v4
	s_waitcnt lgkmcnt(0)
	s_barrier
	buffer_gl0_inv
	ds_read2_b32 v[12:13], v4 offset0:34 offset1:68
	ds_read2_b32 v[18:19], v10 offset0:127 offset1:161
	;; [unrolled: 1-line block ×6, first 2 shown]
	ds_read_b32 v37, v27
	ds_read_b32 v38, v4 offset:1836
	s_and_saveexec_b32 s1, s0
	s_cbranch_execz .LBB0_24
; %bb.23:
	v_add_nc_u32_e32 v8, 0x3b8, v4
	ds_read2_b32 v[8:9], v8 offset1:255
	s_waitcnt lgkmcnt(0)
	v_lshrrev_b32_e32 v30, 16, v8
	v_lshrrev_b32_e32 v31, 16, v9
.LBB0_24:
	s_or_b32 exec_lo, exec_lo, s1
	v_add_nc_u32_e32 v25, 34, v3
	v_add_nc_u32_e32 v24, 0x44, v3
	v_subrev_nc_u32_e32 v10, 17, v3
	v_mov_b32_e32 v11, 0
	v_add_nc_u16 v42, v3, 0xcc
	v_and_b32_e32 v29, 0xff, v25
	v_and_b32_e32 v34, 0xff, v24
	v_cndmask_b32_e64 v10, v10, v3, s0
	v_add_nc_u16 v41, v3, 0xaa
	v_add_nc_u16 v33, v3, 0x88
	v_mul_lo_u16 v29, 0xf1, v29
	v_add_nc_u16 v32, v3, 0x66
	v_mul_lo_u16 v36, 0xf1, v34
	v_lshlrev_b64 v[34:35], 2, v[10:11]
	v_and_b32_e32 v46, 0xff, v42
	v_lshrrev_b16 v45, 12, v29
	v_and_b32_e32 v29, 0xff, v41
	v_and_b32_e32 v44, 0xff, v33
	;; [unrolled: 1-line block ×3, first 2 shown]
	v_mul_lo_u16 v46, 0xf1, v46
	v_add_co_u32 v39, s1, s12, v34
	v_mul_lo_u16 v29, 0xf1, v29
	v_mul_lo_u16 v34, 0xf1, v44
	v_add_co_ci_u32_e64 v40, s1, s13, v35, s1
	v_mul_lo_u16 v35, 0xf1, v43
	v_lshrrev_b16 v44, 12, v46
	v_lshrrev_b16 v46, 12, v29
	;; [unrolled: 1-line block ×5, first 2 shown]
	v_mul_lo_u16 v51, v44, 17
	v_mul_lo_u16 v52, v46, 17
	;; [unrolled: 1-line block ×6, first 2 shown]
	v_mov_b32_e32 v29, 2
	v_sub_nc_u16 v42, v42, v51
	v_sub_nc_u16 v41, v41, v52
	;; [unrolled: 1-line block ×6, first 2 shown]
	v_lshlrev_b32_sdwa v42, v29, v42 dst_sel:DWORD dst_unused:UNUSED_PAD src0_sel:DWORD src1_sel:BYTE_0
	v_lshlrev_b32_sdwa v41, v29, v41 dst_sel:DWORD dst_unused:UNUSED_PAD src0_sel:DWORD src1_sel:BYTE_0
	;; [unrolled: 1-line block ×6, first 2 shown]
	s_clause 0x6
	global_load_dword v53, v42, s[12:13]
	global_load_dword v54, v41, s[12:13]
	global_load_dword v55, v51, s[12:13]
	global_load_dword v56, v52, s[12:13]
	global_load_dword v57, v43, s[12:13]
	global_load_dword v58, v48, s[12:13]
	global_load_dword v39, v[39:40], off
	v_cmp_lt_u32_e64 s1, 16, v3
	v_lshlrev_b32_e32 v10, 2, v10
	v_and_b32_e32 v49, 0xffff, v49
	v_and_b32_e32 v46, 0xffff, v46
	;; [unrolled: 1-line block ×3, first 2 shown]
	v_cndmask_b32_e64 v40, 0, 0x88, s1
	s_waitcnt vmcnt(0) lgkmcnt(0)
	v_mad_u32_u24 v49, 0x88, v49, 0
	v_mad_u32_u24 v46, 0x88, v46, 0
	;; [unrolled: 1-line block ×3, first 2 shown]
	v_add_nc_u32_e32 v40, 0, v40
	s_barrier
	buffer_gl0_inv
	v_add3_u32 v41, v46, v41, v26
	v_add3_u32 v42, v44, v42, v26
	;; [unrolled: 1-line block ×3, first 2 shown]
	v_and_b32_e32 v40, 0xffff, v45
	v_and_b32_e32 v45, 0xffff, v47
	;; [unrolled: 1-line block ×3, first 2 shown]
	v_mad_u32_u24 v40, 0x88, v40, 0
	v_mad_u32_u24 v45, 0x88, v45, 0
	;; [unrolled: 1-line block ×3, first 2 shown]
	v_add3_u32 v40, v40, v48, v26
	v_add3_u32 v43, v45, v43, v26
	;; [unrolled: 1-line block ×4, first 2 shown]
	v_pk_mul_f16 v44, v53, v38 op_sel:[0,1]
	v_pk_mul_f16 v46, v54, v23 op_sel:[0,1]
	;; [unrolled: 1-line block ×7, first 2 shown]
	v_pk_fma_f16 v59, v53, v38, v44 op_sel:[0,0,1] op_sel_hi:[1,1,0]
	v_pk_fma_f16 v38, v53, v38, v44 op_sel:[0,0,1] op_sel_hi:[1,0,0] neg_lo:[1,0,0] neg_hi:[1,0,0]
	v_pk_fma_f16 v44, v54, v23, v46 op_sel:[0,0,1] op_sel_hi:[1,1,0]
	v_pk_fma_f16 v23, v54, v23, v46 op_sel:[0,0,1] op_sel_hi:[1,0,0] neg_lo:[1,0,0] neg_hi:[1,0,0]
	;; [unrolled: 2-line block ×7, first 2 shown]
	v_bfi_b32 v20, 0xffff, v49, v20
	v_bfi_b32 v21, 0xffff, v48, v21
	;; [unrolled: 1-line block ×7, first 2 shown]
	v_pk_add_f16 v19, v12, v19 neg_lo:[0,1] neg_hi:[0,1]
	v_pk_add_f16 v20, v13, v20 neg_lo:[0,1] neg_hi:[0,1]
	;; [unrolled: 1-line block ×7, first 2 shown]
	v_pk_fma_f16 v37, v37, 2.0, v18 op_sel_hi:[1,0,1] neg_lo:[0,0,1] neg_hi:[0,0,1]
	v_pk_fma_f16 v12, v12, 2.0, v19 op_sel_hi:[1,0,1] neg_lo:[0,0,1] neg_hi:[0,0,1]
	;; [unrolled: 1-line block ×7, first 2 shown]
	ds_write2_b32 v10, v37, v18 offset1:17
	ds_write2_b32 v40, v12, v19 offset1:17
	;; [unrolled: 1-line block ×7, first 2 shown]
	s_and_saveexec_b32 s1, s0
	s_cbranch_execz .LBB0_26
; %bb.25:
	v_add_nc_u32_e32 v10, 0xee, v3
	v_mov_b32_e32 v12, 0xf0f1
	v_mul_u32_u24_sdwa v12, v10, v12 dst_sel:DWORD dst_unused:UNUSED_PAD src0_sel:WORD_0 src1_sel:DWORD
	v_lshrrev_b32_e32 v12, 20, v12
	v_mul_lo_u16 v12, v12, 17
	v_sub_nc_u16 v10, v10, v12
	v_lshlrev_b32_sdwa v10, v29, v10 dst_sel:DWORD dst_unused:UNUSED_PAD src0_sel:DWORD src1_sel:WORD_0
	global_load_dword v12, v10, s[12:13]
	v_add3_u32 v10, 0, v10, v26
	v_add_nc_u32_e32 v10, 0x400, v10
	s_waitcnt vmcnt(0)
	v_mul_f16_sdwa v13, v31, v12 dst_sel:DWORD dst_unused:UNUSED_PAD src0_sel:DWORD src1_sel:WORD_1
	v_mul_f16_sdwa v14, v9, v12 dst_sel:DWORD dst_unused:UNUSED_PAD src0_sel:DWORD src1_sel:WORD_1
	v_fmac_f16_e32 v13, v9, v12
	v_fma_f16 v9, v31, v12, -v14
	v_sub_f16_e32 v12, v8, v13
	v_sub_f16_e32 v9, v30, v9
	v_fma_f16 v8, v8, 2.0, -v12
	v_fma_f16 v13, v30, 2.0, -v9
	v_pack_b32_f16 v9, v12, v9
	v_pack_b32_f16 v8, v8, v13
	ds_write2_b32 v10, v8, v9 offset0:220 offset1:237
.LBB0_26:
	s_or_b32 exec_lo, exec_lo, s1
	v_lshlrev_b32_e32 v10, 1, v3
	v_lshrrev_b16 v12, 13, v36
	v_lshrrev_b16 v13, 13, v35
	;; [unrolled: 1-line block ×3, first 2 shown]
	s_waitcnt lgkmcnt(0)
	v_lshlrev_b64 v[8:9], 2, v[10:11]
	v_mul_lo_u16 v12, v12, 34
	v_mul_lo_u16 v15, v13, 34
	s_barrier
	v_mov_b32_e32 v10, 3
	buffer_gl0_inv
	v_add_co_u32 v8, s0, s12, v8
	v_add_co_ci_u32_e64 v9, s0, s13, v9, s0
	v_sub_nc_u16 v42, v24, v12
	v_sub_nc_u16 v43, v32, v15
	v_add_nc_u32_e32 v46, 0x400, v4
	global_load_dwordx2 v[12:13], v[8:9], off offset:68
	v_mul_lo_u16 v8, v14, 34
	v_lshlrev_b32_sdwa v9, v10, v42 dst_sel:DWORD dst_unused:UNUSED_PAD src0_sel:DWORD src1_sel:BYTE_0
	v_sub_nc_u16 v44, v33, v8
	v_lshlrev_b32_sdwa v8, v10, v43 dst_sel:DWORD dst_unused:UNUSED_PAD src0_sel:DWORD src1_sel:BYTE_0
	global_load_dwordx2 v[14:15], v9, s[12:13] offset:68
	v_lshlrev_b32_sdwa v9, v10, v44 dst_sel:DWORD dst_unused:UNUSED_PAD src0_sel:DWORD src1_sel:BYTE_0
	v_lshlrev_b32_e32 v10, 2, v25
	v_lshlrev_b32_sdwa v25, v29, v43 dst_sel:DWORD dst_unused:UNUSED_PAD src0_sel:DWORD src1_sel:BYTE_0
	s_clause 0x1
	global_load_dwordx2 v[16:17], v8, s[12:13] offset:68
	global_load_dwordx2 v[18:19], v9, s[12:13] offset:68
	v_add_nc_u32_e32 v9, 0x200, v4
	ds_read_b32 v45, v27
	ds_read2_b32 v[20:21], v4 offset0:170 offset1:204
	ds_read2_b32 v[22:23], v4 offset0:34 offset1:68
	;; [unrolled: 1-line block ×7, first 2 shown]
	v_lshlrev_b64 v[40:41], 2, v[10:11]
	v_lshlrev_b32_e32 v10, 2, v24
	v_lshlrev_b32_sdwa v24, v29, v42 dst_sel:DWORD dst_unused:UNUSED_PAD src0_sel:DWORD src1_sel:BYTE_0
	v_lshlrev_b32_sdwa v29, v29, v44 dst_sel:DWORD dst_unused:UNUSED_PAD src0_sel:DWORD src1_sel:BYTE_0
	v_mov_b32_e32 v8, v11
	v_add3_u32 v25, 0, v25, v26
	s_waitcnt vmcnt(0) lgkmcnt(0)
	v_add3_u32 v24, 0, v24, v26
	v_add3_u32 v29, 0, v29, v26
	v_lshlrev_b64 v[7:8], 2, v[7:8]
	s_barrier
	buffer_gl0_inv
	v_add_nc_u32_e32 v59, 0x400, v25
	v_add_nc_u32_e32 v60, 0x400, v29
	v_lshrrev_b32_e32 v42, 16, v45
	v_lshrrev_b32_e32 v49, 16, v20
	;; [unrolled: 1-line block ×15, first 2 shown]
	v_add_co_u32 v7, s0, s12, v7
	v_add_co_ci_u32_e64 v8, s0, s13, v8, s0
	v_lshlrev_b64 v[10:11], 2, v[10:11]
	v_mul_f16_sdwa v61, v12, v49 dst_sel:DWORD dst_unused:UNUSED_PAD src0_sel:WORD_1 src1_sel:DWORD
	v_mul_f16_sdwa v62, v12, v20 dst_sel:DWORD dst_unused:UNUSED_PAD src0_sel:WORD_1 src1_sel:DWORD
	;; [unrolled: 1-line block ×8, first 2 shown]
	v_mul_f16_sdwa v69, v51, v14 dst_sel:DWORD dst_unused:UNUSED_PAD src0_sel:DWORD src1_sel:WORD_1
	v_mul_f16_sdwa v70, v36, v14 dst_sel:DWORD dst_unused:UNUSED_PAD src0_sel:DWORD src1_sel:WORD_1
	;; [unrolled: 1-line block ×4, first 2 shown]
	v_fmac_f16_e32 v61, v12, v20
	v_fma_f16 v20, v12, v49, -v62
	v_mul_f16_sdwa v73, v53, v16 dst_sel:DWORD dst_unused:UNUSED_PAD src0_sel:DWORD src1_sel:WORD_1
	v_mul_f16_sdwa v74, v37, v16 dst_sel:DWORD dst_unused:UNUSED_PAD src0_sel:DWORD src1_sel:WORD_1
	;; [unrolled: 1-line block ×8, first 2 shown]
	v_fmac_f16_e32 v63, v13, v33
	v_fma_f16 v33, v13, v57, -v64
	v_fmac_f16_e32 v65, v12, v21
	v_fma_f16 v12, v12, v50, -v66
	v_fmac_f16_e32 v67, v13, v34
	v_fma_f16 v13, v13, v58, -v68
	v_fmac_f16_e32 v69, v36, v14
	v_fma_f16 v14, v51, v14, -v70
	v_fmac_f16_e32 v71, v35, v15
	v_fma_f16 v15, v52, v15, -v72
	v_fmac_f16_e32 v73, v37, v16
	v_fma_f16 v16, v53, v16, -v74
	v_fmac_f16_e32 v75, v38, v17
	v_fma_f16 v17, v54, v17, -v76
	v_fmac_f16_e32 v77, v32, v18
	v_fma_f16 v18, v55, v18, -v78
	v_fmac_f16_e32 v79, v39, v19
	v_fma_f16 v19, v56, v19, -v80
	v_add_f16_e32 v32, v61, v63
	v_sub_f16_e32 v34, v20, v33
	v_add_f16_e32 v35, v42, v20
	v_add_f16_e32 v20, v20, v33
	;; [unrolled: 1-line block ×3, first 2 shown]
	v_sub_f16_e32 v39, v12, v13
	v_add_f16_e32 v49, v43, v12
	v_add_f16_e32 v12, v12, v13
	;; [unrolled: 1-line block ×5, first 2 shown]
	v_sub_f16_e32 v53, v14, v15
	v_add_f16_e32 v54, v44, v14
	v_add_f16_e32 v14, v14, v15
	v_sub_f16_e32 v36, v61, v63
	v_sub_f16_e32 v50, v65, v67
	v_add_f16_e32 v51, v23, v69
	v_add_f16_e32 v57, v73, v75
	v_sub_f16_e32 v58, v16, v17
	v_add_f16_e32 v61, v47, v16
	v_add_f16_e32 v16, v16, v17
	;; [unrolled: 1-line block ×4, first 2 shown]
	v_sub_f16_e32 v66, v18, v19
	v_add_f16_e32 v68, v48, v18
	v_add_f16_e32 v18, v18, v19
	v_fmac_f16_e32 v45, -0.5, v32
	v_fmac_f16_e32 v42, -0.5, v20
	v_add_f16_e32 v56, v30, v73
	v_fma_f16 v22, -0.5, v38, v22
	v_fmac_f16_e32 v43, -0.5, v12
	v_sub_f16_e32 v55, v69, v71
	v_add_f16_e32 v21, v21, v63
	v_add_f16_e32 v32, v35, v33
	;; [unrolled: 1-line block ×4, first 2 shown]
	v_fmac_f16_e32 v23, -0.5, v52
	v_fmac_f16_e32 v44, -0.5, v14
	v_sub_f16_e32 v62, v73, v75
	v_sub_f16_e32 v69, v77, v79
	v_add_f16_e32 v12, v51, v71
	v_add_f16_e32 v15, v54, v15
	v_fma_f16 v30, -0.5, v57, v30
	v_fmac_f16_e32 v47, -0.5, v16
	v_add_f16_e32 v16, v64, v79
	v_fmac_f16_e32 v31, -0.5, v65
	v_add_f16_e32 v19, v68, v19
	v_fmac_f16_e32 v48, -0.5, v18
	v_fmamk_f16 v18, v34, 0xbaee, v45
	v_fmamk_f16 v33, v36, 0x3aee, v42
	v_add_f16_e32 v14, v56, v75
	v_add_f16_e32 v17, v61, v17
	v_fmac_f16_e32 v45, 0x3aee, v34
	v_fmac_f16_e32 v42, 0xbaee, v36
	v_fmamk_f16 v34, v39, 0xbaee, v22
	v_fmac_f16_e32 v22, 0x3aee, v39
	v_fmamk_f16 v35, v50, 0x3aee, v43
	v_fmac_f16_e32 v43, 0xbaee, v50
	v_pack_b32_f16 v21, v21, v32
	v_pack_b32_f16 v13, v20, v13
	v_fmamk_f16 v20, v53, 0xbaee, v23
	v_fmamk_f16 v32, v55, 0x3aee, v44
	v_fmac_f16_e32 v23, 0x3aee, v53
	v_fmac_f16_e32 v44, 0xbaee, v55
	v_fmamk_f16 v36, v58, 0xbaee, v30
	v_fmac_f16_e32 v30, 0x3aee, v58
	v_fmamk_f16 v37, v62, 0x3aee, v47
	;; [unrolled: 2-line block ×4, first 2 shown]
	v_fmac_f16_e32 v48, 0xbaee, v69
	v_pack_b32_f16 v12, v12, v15
	v_pack_b32_f16 v15, v16, v19
	;; [unrolled: 1-line block ×13, first 2 shown]
	ds_write2_b32 v4, v21, v16 offset1:34
	ds_write2_b32 v4, v17, v13 offset0:68 offset1:102
	ds_write2_b32 v4, v18, v19 offset0:136 offset1:170
	;; [unrolled: 1-line block ×3, first 2 shown]
	ds_write_b32 v24, v22 offset:1088
	ds_write2_b32 v59, v14, v23 offset0:50 offset1:84
	ds_write_b32 v25, v30 offset:1496
	ds_write2_b32 v60, v15, v32 offset0:152 offset1:186
	ds_write_b32 v29, v31 offset:1904
	s_waitcnt lgkmcnt(0)
	s_barrier
	buffer_gl0_inv
	global_load_dwordx4 v[12:15], v[7:8], off offset:340
	v_add_co_u32 v7, s0, s12, v40
	v_add_co_ci_u32_e64 v8, s0, s13, v41, s0
	global_load_dwordx4 v[16:19], v[7:8], off offset:340
	v_add_co_u32 v7, s0, s12, v10
	v_add_co_ci_u32_e64 v8, s0, s13, v11, s0
	v_add_nc_u32_e32 v10, v28, v26
	global_load_dwordx4 v[20:23], v[7:8], off offset:340
	ds_read_b32 v11, v27
	ds_read2_b32 v[7:8], v4 offset0:34 offset1:68
	ds_read2_b32 v[24:25], v9 offset0:110 offset1:144
	;; [unrolled: 1-line block ×7, first 2 shown]
	ds_read_u16 v38, v4 offset:546
	s_waitcnt vmcnt(0) lgkmcnt(0)
	s_barrier
	buffer_gl0_inv
	v_add_nc_u32_e32 v28, 0x200, v10
	v_add_nc_u32_e32 v37, 0x400, v10
	v_lshrrev_b32_e32 v39, 16, v11
	v_lshrrev_b32_e32 v40, 16, v7
	;; [unrolled: 1-line block ×14, first 2 shown]
	v_mul_f16_sdwa v53, v12, v48 dst_sel:DWORD dst_unused:UNUSED_PAD src0_sel:WORD_1 src1_sel:DWORD
	v_mul_f16_sdwa v54, v12, v35 dst_sel:DWORD dst_unused:UNUSED_PAD src0_sel:WORD_1 src1_sel:DWORD
	;; [unrolled: 1-line block ×8, first 2 shown]
	v_mul_f16_sdwa v61, v38, v16 dst_sel:DWORD dst_unused:UNUSED_PAD src0_sel:DWORD src1_sel:WORD_1
	v_mul_f16_sdwa v62, v16, v36 dst_sel:DWORD dst_unused:UNUSED_PAD src0_sel:WORD_1 src1_sel:DWORD
	v_mul_f16_sdwa v63, v41, v17 dst_sel:DWORD dst_unused:UNUSED_PAD src0_sel:DWORD src1_sel:WORD_1
	v_mul_f16_sdwa v64, v24, v17 dst_sel:DWORD dst_unused:UNUSED_PAD src0_sel:DWORD src1_sel:WORD_1
	v_mul_f16_sdwa v65, v42, v18 dst_sel:DWORD dst_unused:UNUSED_PAD src0_sel:DWORD src1_sel:WORD_1
	v_mul_f16_sdwa v66, v30, v18 dst_sel:DWORD dst_unused:UNUSED_PAD src0_sel:DWORD src1_sel:WORD_1
	v_mul_f16_sdwa v67, v43, v19 dst_sel:DWORD dst_unused:UNUSED_PAD src0_sel:DWORD src1_sel:WORD_1
	v_mul_f16_sdwa v68, v31, v19 dst_sel:DWORD dst_unused:UNUSED_PAD src0_sel:DWORD src1_sel:WORD_1
	v_mul_f16_sdwa v69, v45, v20 dst_sel:DWORD dst_unused:UNUSED_PAD src0_sel:DWORD src1_sel:WORD_1
	v_mul_f16_sdwa v70, v33, v20 dst_sel:DWORD dst_unused:UNUSED_PAD src0_sel:DWORD src1_sel:WORD_1
	v_mul_f16_sdwa v71, v46, v21 dst_sel:DWORD dst_unused:UNUSED_PAD src0_sel:DWORD src1_sel:WORD_1
	v_mul_f16_sdwa v72, v25, v21 dst_sel:DWORD dst_unused:UNUSED_PAD src0_sel:DWORD src1_sel:WORD_1
	v_mul_f16_sdwa v73, v47, v22 dst_sel:DWORD dst_unused:UNUSED_PAD src0_sel:DWORD src1_sel:WORD_1
	v_mul_f16_sdwa v74, v26, v22 dst_sel:DWORD dst_unused:UNUSED_PAD src0_sel:DWORD src1_sel:WORD_1
	v_mul_f16_sdwa v75, v49, v23 dst_sel:DWORD dst_unused:UNUSED_PAD src0_sel:DWORD src1_sel:WORD_1
	v_mul_f16_sdwa v76, v32, v23 dst_sel:DWORD dst_unused:UNUSED_PAD src0_sel:DWORD src1_sel:WORD_1
	v_fmac_f16_e32 v53, v12, v35
	v_fma_f16 v12, v12, v48, -v54
	v_fmac_f16_e32 v55, v13, v34
	v_fma_f16 v13, v13, v50, -v56
	;; [unrolled: 2-line block ×7, first 2 shown]
	v_fmac_f16_e32 v67, v31, v19
	v_fmac_f16_e32 v69, v33, v20
	v_fma_f16 v20, v45, v20, -v70
	v_fmac_f16_e32 v71, v25, v21
	v_fma_f16 v21, v46, v21, -v72
	;; [unrolled: 2-line block ×3, first 2 shown]
	v_fma_f16 v19, v43, v19, -v68
	v_fmac_f16_e32 v75, v32, v23
	v_fma_f16 v23, v49, v23, -v76
	v_add_f16_e32 v25, v55, v57
	v_add_f16_e32 v31, v53, v59
	;; [unrolled: 1-line block ×6, first 2 shown]
	v_sub_f16_e32 v29, v53, v55
	v_sub_f16_e32 v30, v59, v57
	;; [unrolled: 1-line block ×6, first 2 shown]
	v_add_f16_e32 v46, v7, v61
	v_add_f16_e32 v47, v63, v65
	v_sub_f16_e32 v50, v61, v63
	v_sub_f16_e32 v51, v67, v65
	v_add_f16_e32 v56, v40, v16
	v_add_f16_e32 v58, v17, v18
	;; [unrolled: 1-line block ×9, first 2 shown]
	v_sub_f16_e32 v27, v13, v14
	v_sub_f16_e32 v36, v53, v59
	;; [unrolled: 1-line block ×5, first 2 shown]
	v_fma_f16 v25, -0.5, v25, v11
	v_fmac_f16_e32 v11, -0.5, v31
	v_fma_f16 v31, -0.5, v35, v39
	v_fmac_f16_e32 v39, -0.5, v43
	v_sub_f16_e32 v26, v12, v15
	v_sub_f16_e32 v12, v13, v12
	v_add_f16_e32 v13, v34, v13
	v_sub_f16_e32 v45, v14, v15
	v_add_f16_e32 v70, v8, v69
	v_sub_f16_e32 v48, v16, v19
	v_sub_f16_e32 v49, v17, v18
	;; [unrolled: 1-line block ×13, first 2 shown]
	v_add_f16_e32 v24, v24, v55
	v_add_f16_e32 v29, v29, v30
	;; [unrolled: 1-line block ×5, first 2 shown]
	v_fma_f16 v34, -0.5, v47, v7
	v_add_f16_e32 v35, v50, v51
	v_add_f16_e32 v17, v56, v17
	v_fma_f16 v42, -0.5, v58, v40
	v_fma_f16 v46, -0.5, v72, v8
	v_add_f16_e32 v21, v82, v21
	v_fma_f16 v51, -0.5, v83, v44
	v_sub_f16_e32 v61, v63, v65
	v_sub_f16_e32 v84, v71, v73
	v_fma_f16 v7, -0.5, v52, v7
	v_fmac_f16_e32 v40, -0.5, v66
	v_fmac_f16_e32 v8, -0.5, v79
	;; [unrolled: 1-line block ×3, first 2 shown]
	v_add_f16_e32 v41, v53, v54
	v_fmamk_f16 v54, v27, 0x3b9c, v11
	v_fmac_f16_e32 v11, 0xbb9c, v27
	v_fmamk_f16 v55, v38, 0xbb9c, v39
	v_fmac_f16_e32 v39, 0x3b9c, v38
	;; [unrolled: 2-line block ×3, first 2 shown]
	v_add_f16_e32 v13, v13, v14
	v_fmamk_f16 v14, v36, 0x3b9c, v31
	v_fmac_f16_e32 v31, 0xbb9c, v36
	v_add_f16_e32 v12, v12, v45
	v_add_f16_e32 v45, v70, v71
	v_sub_f16_e32 v68, v18, v19
	v_sub_f16_e32 v78, v75, v73
	;; [unrolled: 1-line block ×4, first 2 shown]
	v_add_f16_e32 v43, v62, v64
	v_add_f16_e32 v24, v24, v57
	;; [unrolled: 1-line block ×3, first 2 shown]
	v_fmamk_f16 v56, v48, 0xbb9c, v34
	v_add_f16_e32 v17, v17, v18
	v_fmamk_f16 v18, v60, 0x3b9c, v42
	v_fmamk_f16 v62, v74, 0xbb9c, v46
	v_add_f16_e32 v21, v21, v22
	v_fmamk_f16 v22, v69, 0x3b9c, v51
	v_sub_f16_e32 v81, v73, v75
	v_fmamk_f16 v57, v49, 0x3b9c, v7
	v_fmamk_f16 v58, v61, 0xbb9c, v40
	v_fmamk_f16 v63, v76, 0x3b9c, v8
	v_fmamk_f16 v64, v84, 0xbb9c, v44
	v_fmac_f16_e32 v34, 0x3b9c, v48
	v_fmac_f16_e32 v7, 0xbb9c, v49
	;; [unrolled: 1-line block ×14, first 2 shown]
	v_add_f16_e32 v45, v45, v73
	v_fmac_f16_e32 v53, 0xb8b4, v27
	v_fmac_f16_e32 v14, 0x38b4, v38
	v_add_f16_e32 v47, v77, v78
	v_add_f16_e32 v52, v85, v86
	;; [unrolled: 1-line block ×5, first 2 shown]
	v_fmac_f16_e32 v56, 0xb8b4, v49
	v_add_f16_e32 v17, v17, v19
	v_fmac_f16_e32 v18, 0x38b4, v61
	v_fmac_f16_e32 v62, 0xb8b4, v76
	;; [unrolled: 1-line block ×3, first 2 shown]
	v_add_f16_e32 v16, v16, v68
	v_add_f16_e32 v50, v80, v81
	;; [unrolled: 1-line block ×3, first 2 shown]
	v_fmac_f16_e32 v57, 0xb8b4, v48
	v_fmac_f16_e32 v58, 0x38b4, v60
	;; [unrolled: 1-line block ×18, first 2 shown]
	v_add_f16_e32 v19, v45, v75
	v_add_f16_e32 v21, v21, v23
	v_fmac_f16_e32 v53, 0x34f2, v29
	v_fmac_f16_e32 v14, 0x34f2, v32
	;; [unrolled: 1-line block ×6, first 2 shown]
	v_pack_b32_f16 v12, v24, v13
	v_pack_b32_f16 v13, v15, v17
	v_fmac_f16_e32 v57, 0x34f2, v41
	v_fmac_f16_e32 v58, 0x34f2, v16
	;; [unrolled: 1-line block ×12, first 2 shown]
	v_pack_b32_f16 v16, v54, v55
	v_pack_b32_f16 v11, v11, v39
	;; [unrolled: 1-line block ×5, first 2 shown]
	ds_write2_b32 v4, v12, v13 offset1:34
	v_pack_b32_f16 v12, v56, v18
	v_pack_b32_f16 v19, v62, v22
	;; [unrolled: 1-line block ×8, first 2 shown]
	ds_write2_b32 v9, v16, v11 offset0:76 offset1:178
	ds_write_b32 v4, v17 offset:1632
	ds_write2_b32 v4, v15, v14 offset0:68 offset1:102
	ds_write2_b32 v10, v12, v19 offset0:136 offset1:170
	;; [unrolled: 1-line block ×5, first 2 shown]
	s_waitcnt lgkmcnt(0)
	s_barrier
	buffer_gl0_inv
	s_and_saveexec_b32 s0, vcc_lo
	s_cbranch_execz .LBB0_28
; %bb.27:
	v_mul_lo_u32 v4, s3, v5
	v_mul_lo_u32 v7, s2, v6
	v_mad_u64_u32 v[5:6], null, s2, v5, 0
	v_lshl_add_u32 v19, v3, 2, v0
	v_lshlrev_b64 v[0:1], 2, v[1:2]
	v_add_nc_u32_e32 v9, 0x44, v3
	v_add_nc_u32_e32 v15, 0xcc, v3
	ds_read2_b32 v[11:12], v19 offset1:34
	v_add3_u32 v6, v6, v7, v4
	v_mov_b32_e32 v4, 0
	v_add_nc_u32_e32 v7, 34, v3
	v_lshlrev_b64 v[5:6], 2, v[5:6]
	v_mov_b32_e32 v8, v4
	v_lshlrev_b64 v[13:14], 2, v[3:4]
	v_mov_b32_e32 v10, v4
	v_mov_b32_e32 v16, v4
	v_add_co_u32 v2, vcc_lo, s10, v5
	v_add_co_ci_u32_e32 v5, vcc_lo, s11, v6, vcc_lo
	v_add_co_u32 v20, vcc_lo, v2, v0
	v_add_co_ci_u32_e32 v21, vcc_lo, v5, v1, vcc_lo
	v_lshlrev_b64 v[0:1], 2, v[7:8]
	v_add_co_u32 v5, vcc_lo, v20, v13
	v_add_co_ci_u32_e32 v6, vcc_lo, v21, v14, vcc_lo
	v_add_nc_u32_e32 v7, 0x66, v3
	v_add_co_u32 v0, vcc_lo, v20, v0
	v_add_co_ci_u32_e32 v1, vcc_lo, v21, v1, vcc_lo
	s_waitcnt lgkmcnt(0)
	global_store_dword v[5:6], v11, off
	global_store_dword v[0:1], v12, off
	ds_read2_b32 v[0:1], v19 offset0:68 offset1:102
	ds_read2_b32 v[11:12], v19 offset0:136 offset1:170
	v_lshlrev_b64 v[5:6], 2, v[9:10]
	v_add_nc_u32_e32 v9, 0x88, v3
	v_lshlrev_b64 v[7:8], 2, v[7:8]
	v_add_nc_u32_e32 v13, 0xaa, v3
	v_mov_b32_e32 v14, v4
	ds_read2_b32 v[17:18], v19 offset0:204 offset1:238
	v_add_co_u32 v5, vcc_lo, v20, v5
	v_lshlrev_b64 v[9:10], 2, v[9:10]
	v_add_co_ci_u32_e32 v6, vcc_lo, v21, v6, vcc_lo
	v_add_co_u32 v7, vcc_lo, v20, v7
	v_add_co_ci_u32_e32 v8, vcc_lo, v21, v8, vcc_lo
	v_add_co_u32 v9, vcc_lo, v20, v9
	v_add_co_ci_u32_e32 v10, vcc_lo, v21, v10, vcc_lo
	v_lshlrev_b64 v[13:14], 2, v[13:14]
	s_waitcnt lgkmcnt(2)
	global_store_dword v[5:6], v0, off
	global_store_dword v[7:8], v1, off
	s_waitcnt lgkmcnt(1)
	global_store_dword v[9:10], v11, off
	v_lshlrev_b64 v[0:1], 2, v[15:16]
	v_add_nc_u32_e32 v2, 0x400, v19
	v_add_nc_u32_e32 v7, 0xee, v3
	v_mov_b32_e32 v8, v4
	v_add_co_u32 v5, vcc_lo, v20, v13
	v_add_co_ci_u32_e32 v6, vcc_lo, v21, v14, vcc_lo
	v_add_co_u32 v0, vcc_lo, v20, v0
	v_add_co_ci_u32_e32 v1, vcc_lo, v21, v1, vcc_lo
	v_add_nc_u32_e32 v9, 0x110, v3
	v_mov_b32_e32 v10, v4
	global_store_dword v[5:6], v12, off
	s_waitcnt lgkmcnt(0)
	global_store_dword v[0:1], v17, off
	ds_read2_b32 v[5:6], v2 offset0:16 offset1:50
	v_lshlrev_b64 v[0:1], 2, v[7:8]
	v_add_nc_u32_e32 v11, 0x154, v3
	v_lshlrev_b64 v[7:8], 2, v[9:10]
	v_add_nc_u32_e32 v9, 0x132, v3
	v_mov_b32_e32 v12, v4
	v_add_nc_u32_e32 v13, 0x1ba, v3
	v_add_co_u32 v0, vcc_lo, v20, v0
	v_lshlrev_b64 v[9:10], 2, v[9:10]
	v_add_co_ci_u32_e32 v1, vcc_lo, v21, v1, vcc_lo
	v_add_co_u32 v7, vcc_lo, v20, v7
	v_add_co_ci_u32_e32 v8, vcc_lo, v21, v8, vcc_lo
	v_add_co_u32 v9, vcc_lo, v20, v9
	v_add_co_ci_u32_e32 v10, vcc_lo, v21, v10, vcc_lo
	global_store_dword v[0:1], v18, off
	s_waitcnt lgkmcnt(0)
	global_store_dword v[7:8], v5, off
	global_store_dword v[9:10], v6, off
	v_add_nc_u32_e32 v7, 0x176, v3
	v_mov_b32_e32 v8, v4
	v_lshlrev_b64 v[5:6], 2, v[11:12]
	ds_read2_b32 v[0:1], v2 offset0:84 offset1:118
	v_add_nc_u32_e32 v9, 0x198, v3
	v_mov_b32_e32 v10, v4
	v_lshlrev_b64 v[7:8], 2, v[7:8]
	ds_read2_b32 v[11:12], v2 offset0:152 offset1:186
	v_mov_b32_e32 v14, v4
	ds_read_b32 v15, v19 offset:1904
	v_add_co_u32 v5, vcc_lo, v20, v5
	v_lshlrev_b64 v[9:10], 2, v[9:10]
	v_add_nc_u32_e32 v3, 0x1dc, v3
	v_add_co_ci_u32_e32 v6, vcc_lo, v21, v6, vcc_lo
	v_add_co_u32 v7, vcc_lo, v20, v7
	v_lshlrev_b64 v[13:14], 2, v[13:14]
	v_add_co_ci_u32_e32 v8, vcc_lo, v21, v8, vcc_lo
	v_add_co_u32 v9, vcc_lo, v20, v9
	v_lshlrev_b64 v[2:3], 2, v[3:4]
	v_add_co_ci_u32_e32 v10, vcc_lo, v21, v10, vcc_lo
	v_add_co_u32 v13, vcc_lo, v20, v13
	v_add_co_ci_u32_e32 v14, vcc_lo, v21, v14, vcc_lo
	v_add_co_u32 v2, vcc_lo, v20, v2
	v_add_co_ci_u32_e32 v3, vcc_lo, v21, v3, vcc_lo
	s_waitcnt lgkmcnt(2)
	global_store_dword v[5:6], v0, off
	global_store_dword v[7:8], v1, off
	s_waitcnt lgkmcnt(1)
	global_store_dword v[9:10], v11, off
	global_store_dword v[13:14], v12, off
	s_waitcnt lgkmcnt(0)
	global_store_dword v[2:3], v15, off
.LBB0_28:
	s_endpgm
	.section	.rodata,"a",@progbits
	.p2align	6, 0x0
	.amdhsa_kernel fft_rtc_back_len510_factors_17_2_3_5_wgs_238_tpt_34_halfLds_half_op_CI_CI_unitstride_sbrr_C2R_dirReg
		.amdhsa_group_segment_fixed_size 0
		.amdhsa_private_segment_fixed_size 0
		.amdhsa_kernarg_size 104
		.amdhsa_user_sgpr_count 6
		.amdhsa_user_sgpr_private_segment_buffer 1
		.amdhsa_user_sgpr_dispatch_ptr 0
		.amdhsa_user_sgpr_queue_ptr 0
		.amdhsa_user_sgpr_kernarg_segment_ptr 1
		.amdhsa_user_sgpr_dispatch_id 0
		.amdhsa_user_sgpr_flat_scratch_init 0
		.amdhsa_user_sgpr_private_segment_size 0
		.amdhsa_wavefront_size32 1
		.amdhsa_uses_dynamic_stack 0
		.amdhsa_system_sgpr_private_segment_wavefront_offset 0
		.amdhsa_system_sgpr_workgroup_id_x 1
		.amdhsa_system_sgpr_workgroup_id_y 0
		.amdhsa_system_sgpr_workgroup_id_z 0
		.amdhsa_system_sgpr_workgroup_info 0
		.amdhsa_system_vgpr_workitem_id 0
		.amdhsa_next_free_vgpr 164
		.amdhsa_next_free_sgpr 27
		.amdhsa_reserve_vcc 1
		.amdhsa_reserve_flat_scratch 0
		.amdhsa_float_round_mode_32 0
		.amdhsa_float_round_mode_16_64 0
		.amdhsa_float_denorm_mode_32 3
		.amdhsa_float_denorm_mode_16_64 3
		.amdhsa_dx10_clamp 1
		.amdhsa_ieee_mode 1
		.amdhsa_fp16_overflow 0
		.amdhsa_workgroup_processor_mode 1
		.amdhsa_memory_ordered 1
		.amdhsa_forward_progress 0
		.amdhsa_shared_vgpr_count 0
		.amdhsa_exception_fp_ieee_invalid_op 0
		.amdhsa_exception_fp_denorm_src 0
		.amdhsa_exception_fp_ieee_div_zero 0
		.amdhsa_exception_fp_ieee_overflow 0
		.amdhsa_exception_fp_ieee_underflow 0
		.amdhsa_exception_fp_ieee_inexact 0
		.amdhsa_exception_int_div_zero 0
	.end_amdhsa_kernel
	.text
.Lfunc_end0:
	.size	fft_rtc_back_len510_factors_17_2_3_5_wgs_238_tpt_34_halfLds_half_op_CI_CI_unitstride_sbrr_C2R_dirReg, .Lfunc_end0-fft_rtc_back_len510_factors_17_2_3_5_wgs_238_tpt_34_halfLds_half_op_CI_CI_unitstride_sbrr_C2R_dirReg
                                        ; -- End function
	.section	.AMDGPU.csdata,"",@progbits
; Kernel info:
; codeLenInByte = 13784
; NumSgprs: 29
; NumVgprs: 164
; ScratchSize: 0
; MemoryBound: 0
; FloatMode: 240
; IeeeMode: 1
; LDSByteSize: 0 bytes/workgroup (compile time only)
; SGPRBlocks: 3
; VGPRBlocks: 20
; NumSGPRsForWavesPerEU: 29
; NumVGPRsForWavesPerEU: 164
; Occupancy: 5
; WaveLimiterHint : 1
; COMPUTE_PGM_RSRC2:SCRATCH_EN: 0
; COMPUTE_PGM_RSRC2:USER_SGPR: 6
; COMPUTE_PGM_RSRC2:TRAP_HANDLER: 0
; COMPUTE_PGM_RSRC2:TGID_X_EN: 1
; COMPUTE_PGM_RSRC2:TGID_Y_EN: 0
; COMPUTE_PGM_RSRC2:TGID_Z_EN: 0
; COMPUTE_PGM_RSRC2:TIDIG_COMP_CNT: 0
	.text
	.p2alignl 6, 3214868480
	.fill 48, 4, 3214868480
	.type	__hip_cuid_79bd105bf2c66cf1,@object ; @__hip_cuid_79bd105bf2c66cf1
	.section	.bss,"aw",@nobits
	.globl	__hip_cuid_79bd105bf2c66cf1
__hip_cuid_79bd105bf2c66cf1:
	.byte	0                               ; 0x0
	.size	__hip_cuid_79bd105bf2c66cf1, 1

	.ident	"AMD clang version 19.0.0git (https://github.com/RadeonOpenCompute/llvm-project roc-6.4.0 25133 c7fe45cf4b819c5991fe208aaa96edf142730f1d)"
	.section	".note.GNU-stack","",@progbits
	.addrsig
	.addrsig_sym __hip_cuid_79bd105bf2c66cf1
	.amdgpu_metadata
---
amdhsa.kernels:
  - .args:
      - .actual_access:  read_only
        .address_space:  global
        .offset:         0
        .size:           8
        .value_kind:     global_buffer
      - .offset:         8
        .size:           8
        .value_kind:     by_value
      - .actual_access:  read_only
        .address_space:  global
        .offset:         16
        .size:           8
        .value_kind:     global_buffer
      - .actual_access:  read_only
        .address_space:  global
        .offset:         24
        .size:           8
        .value_kind:     global_buffer
      - .actual_access:  read_only
        .address_space:  global
        .offset:         32
        .size:           8
        .value_kind:     global_buffer
      - .offset:         40
        .size:           8
        .value_kind:     by_value
      - .actual_access:  read_only
        .address_space:  global
        .offset:         48
        .size:           8
        .value_kind:     global_buffer
      - .actual_access:  read_only
        .address_space:  global
        .offset:         56
        .size:           8
        .value_kind:     global_buffer
      - .offset:         64
        .size:           4
        .value_kind:     by_value
      - .actual_access:  read_only
        .address_space:  global
        .offset:         72
        .size:           8
        .value_kind:     global_buffer
      - .actual_access:  read_only
        .address_space:  global
        .offset:         80
        .size:           8
        .value_kind:     global_buffer
      - .actual_access:  read_only
        .address_space:  global
        .offset:         88
        .size:           8
        .value_kind:     global_buffer
      - .actual_access:  write_only
        .address_space:  global
        .offset:         96
        .size:           8
        .value_kind:     global_buffer
    .group_segment_fixed_size: 0
    .kernarg_segment_align: 8
    .kernarg_segment_size: 104
    .language:       OpenCL C
    .language_version:
      - 2
      - 0
    .max_flat_workgroup_size: 238
    .name:           fft_rtc_back_len510_factors_17_2_3_5_wgs_238_tpt_34_halfLds_half_op_CI_CI_unitstride_sbrr_C2R_dirReg
    .private_segment_fixed_size: 0
    .sgpr_count:     29
    .sgpr_spill_count: 0
    .symbol:         fft_rtc_back_len510_factors_17_2_3_5_wgs_238_tpt_34_halfLds_half_op_CI_CI_unitstride_sbrr_C2R_dirReg.kd
    .uniform_work_group_size: 1
    .uses_dynamic_stack: false
    .vgpr_count:     164
    .vgpr_spill_count: 0
    .wavefront_size: 32
    .workgroup_processor_mode: 1
amdhsa.target:   amdgcn-amd-amdhsa--gfx1030
amdhsa.version:
  - 1
  - 2
...

	.end_amdgpu_metadata
